;; amdgpu-corpus repo=ROCm/rocFFT kind=compiled arch=gfx906 opt=O3
	.text
	.amdgcn_target "amdgcn-amd-amdhsa--gfx906"
	.amdhsa_code_object_version 6
	.protected	bluestein_single_back_len2592_dim1_sp_op_CI_CI ; -- Begin function bluestein_single_back_len2592_dim1_sp_op_CI_CI
	.globl	bluestein_single_back_len2592_dim1_sp_op_CI_CI
	.p2align	8
	.type	bluestein_single_back_len2592_dim1_sp_op_CI_CI,@function
bluestein_single_back_len2592_dim1_sp_op_CI_CI: ; @bluestein_single_back_len2592_dim1_sp_op_CI_CI
; %bb.0:
	s_load_dwordx4 s[16:19], s[4:5], 0x28
	v_mul_u32_u24_e32 v1, 0x130, v0
	v_add_u32_sdwa v52, s6, v1 dst_sel:DWORD dst_unused:UNUSED_PAD src0_sel:DWORD src1_sel:WORD_1
	v_mov_b32_e32 v53, 0
	s_waitcnt lgkmcnt(0)
	v_cmp_gt_u64_e32 vcc, s[16:17], v[52:53]
	s_and_saveexec_b64 s[0:1], vcc
	s_cbranch_execz .LBB0_2
; %bb.1:
	s_load_dwordx4 s[0:3], s[4:5], 0x18
	s_load_dwordx4 s[8:11], s[4:5], 0x0
	s_movk_i32 s16, 0xd8
	v_mul_lo_u16_sdwa v1, v1, s16 dst_sel:DWORD dst_unused:UNUSED_PAD src0_sel:WORD_1 src1_sel:DWORD
	v_sub_u16_e32 v88, v0, v1
	s_waitcnt lgkmcnt(0)
	s_load_dwordx4 s[12:15], s[0:1], 0x0
	v_lshlrev_b32_e32 v89, 3, v88
	s_movk_i32 s6, 0x1000
	global_load_dwordx2 v[63:64], v89, s[8:9]
	global_load_dwordx2 v[61:62], v89, s[8:9] offset:3456
	s_waitcnt lgkmcnt(0)
	v_mad_u64_u32 v[0:1], s[0:1], s14, v52, 0
	v_mad_u64_u32 v[2:3], s[0:1], s12, v88, 0
	s_movk_i32 s7, 0x2000
	s_movk_i32 s14, 0x3000
	v_mad_u64_u32 v[4:5], s[0:1], s15, v52, v[1:2]
	v_mov_b32_e32 v87, 0xffffc340
	v_add_u32_e32 v93, 0x1a00, v89
	v_mad_u64_u32 v[5:6], s[0:1], s13, v88, v[3:4]
	v_mov_b32_e32 v1, v4
	v_lshlrev_b64 v[0:1], 3, v[0:1]
	v_mov_b32_e32 v6, s19
	v_mov_b32_e32 v3, v5
	v_add_co_u32_e32 v4, vcc, s18, v0
	v_addc_co_u32_e32 v5, vcc, v6, v1, vcc
	v_lshlrev_b64 v[0:1], 3, v[2:3]
	s_mul_i32 s0, s13, 0xd80
	v_add_co_u32_e32 v0, vcc, v4, v0
	v_addc_co_u32_e32 v1, vcc, v5, v1, vcc
	v_mov_b32_e32 v4, s9
	v_add_co_u32_e32 v95, vcc, s8, v89
	s_mul_hi_u32 s1, s12, 0xd80
	v_addc_co_u32_e32 v96, vcc, 0, v4, vcc
	s_add_i32 s0, s1, s0
	s_mul_i32 s1, s12, 0xd80
	global_load_dwordx2 v[2:3], v[0:1], off
	v_mov_b32_e32 v4, s0
	v_add_co_u32_e32 v0, vcc, s1, v0
	v_addc_co_u32_e32 v1, vcc, v1, v4, vcc
	v_mov_b32_e32 v5, s0
	v_add_co_u32_e32 v4, vcc, s1, v0
	v_addc_co_u32_e32 v5, vcc, v1, v5, vcc
	global_load_dwordx2 v[6:7], v[0:1], off
	global_load_dwordx2 v[8:9], v[4:5], off
	v_add_co_u32_e32 v0, vcc, s6, v95
	v_addc_co_u32_e32 v1, vcc, 0, v96, vcc
	v_mov_b32_e32 v10, s0
	v_add_co_u32_e32 v4, vcc, s1, v4
	v_addc_co_u32_e32 v5, vcc, v5, v10, vcc
	v_add_co_u32_e32 v12, vcc, s7, v95
	v_addc_co_u32_e32 v13, vcc, 0, v96, vcc
	global_load_dwordx2 v[10:11], v[4:5], off
	v_mov_b32_e32 v14, s0
	v_add_co_u32_e32 v4, vcc, s1, v4
	v_addc_co_u32_e32 v5, vcc, v5, v14, vcc
	v_add_co_u32_e32 v16, vcc, s14, v95
	global_load_dwordx2 v[59:60], v[0:1], off offset:2816
	v_addc_co_u32_e32 v17, vcc, 0, v96, vcc
	global_load_dwordx2 v[14:15], v[4:5], off
	v_mov_b32_e32 v18, s0
	v_add_co_u32_e32 v4, vcc, s1, v4
	global_load_dwordx2 v[57:58], v[12:13], off offset:2176
	global_load_dwordx2 v[53:54], v[16:17], off offset:1536
	v_addc_co_u32_e32 v5, vcc, v5, v18, vcc
	global_load_dwordx2 v[18:19], v[4:5], off
	s_movk_i32 s6, 0x4000
	v_mad_u64_u32 v[4:5], s[18:19], s12, v87, v[4:5]
	v_add_co_u32_e32 v20, vcc, s6, v95
	v_addc_co_u32_e32 v21, vcc, 0, v96, vcc
	global_load_dwordx2 v[55:56], v[20:21], off offset:896
	s_mulk_i32 s13, 0xc340
	s_sub_i32 s12, s13, s12
	v_add_u32_e32 v5, s12, v5
	global_load_dwordx2 v[22:23], v[4:5], off
	global_load_dwordx2 v[50:51], v89, s[8:9] offset:1728
	v_mov_b32_e32 v24, s0
	v_add_co_u32_e32 v4, vcc, s1, v4
	v_addc_co_u32_e32 v5, vcc, v5, v24, vcc
	global_load_dwordx2 v[24:25], v[4:5], off
	global_load_dwordx2 v[46:47], v[0:1], off offset:1088
	v_mov_b32_e32 v1, s0
	v_add_co_u32_e32 v0, vcc, s1, v4
	v_addc_co_u32_e32 v1, vcc, v5, v1, vcc
	global_load_dwordx2 v[4:5], v[0:1], off
	global_load_dwordx2 v[44:45], v[12:13], off offset:3904
	global_load_dwordx2 v[48:49], v[12:13], off offset:448
	v_mov_b32_e32 v12, s0
	v_add_co_u32_e32 v0, vcc, s1, v0
	v_addc_co_u32_e32 v1, vcc, v1, v12, vcc
	global_load_dwordx2 v[12:13], v[0:1], off
	v_mov_b32_e32 v26, s0
	v_add_co_u32_e32 v0, vcc, s1, v0
	v_addc_co_u32_e32 v1, vcc, v1, v26, vcc
	global_load_dwordx2 v[26:27], v[0:1], off
	global_load_dwordx2 v[42:43], v[16:17], off offset:3264
	v_mov_b32_e32 v16, s0
	v_add_co_u32_e32 v0, vcc, s1, v0
	v_addc_co_u32_e32 v1, vcc, v1, v16, vcc
	global_load_dwordx2 v[16:17], v[0:1], off
	global_load_dwordx2 v[40:41], v[20:21], off offset:2624
	s_waitcnt vmcnt(21)
	v_mul_f32_e32 v0, v3, v64
	v_mul_f32_e32 v1, v2, v64
	v_fmac_f32_e32 v0, v2, v63
	v_fma_f32 v1, v3, v63, -v1
	s_waitcnt vmcnt(20)
	v_mul_f32_e32 v2, v7, v62
	v_mul_f32_e32 v3, v6, v62
	v_fmac_f32_e32 v2, v6, v61
	v_fma_f32 v3, v7, v61, -v3
	ds_write_b64 v89, v[2:3] offset:3456
	s_load_dwordx4 s[0:3], s[2:3], 0x0
	v_add_u32_e32 v94, 0xd00, v89
	v_add_u32_e32 v91, 0x3600, v89
	;; [unrolled: 1-line block ×4, first 2 shown]
	v_add_co_u32_e32 v20, vcc, s16, v88
	s_movk_i32 s8, 0xab
	s_load_dwordx2 s[4:5], s[4:5], 0x38
	s_waitcnt vmcnt(17)
	v_mul_f32_e32 v2, v9, v60
	v_mul_f32_e32 v3, v8, v60
	v_fmac_f32_e32 v2, v8, v59
	v_fma_f32 v3, v9, v59, -v3
	ds_write_b64 v89, v[2:3] offset:6912
	s_waitcnt vmcnt(15)
	v_mul_f32_e32 v2, v11, v58
	v_mul_f32_e32 v3, v10, v58
	v_fmac_f32_e32 v2, v10, v57
	v_fma_f32 v3, v11, v57, -v3
	ds_write_b64 v89, v[2:3] offset:10368
	;; [unrolled: 6-line block ×4, first 2 shown]
	s_waitcnt vmcnt(10)
	v_mul_f32_e32 v2, v23, v51
	v_mul_f32_e32 v3, v22, v51
	v_fmac_f32_e32 v2, v22, v50
	v_fma_f32 v3, v23, v50, -v3
	ds_write2_b64 v89, v[0:1], v[2:3] offset1:216
	s_waitcnt vmcnt(8)
	v_mul_f32_e32 v0, v25, v47
	v_mul_f32_e32 v1, v24, v47
	v_fmac_f32_e32 v0, v24, v46
	v_fma_f32 v1, v25, v46, -v1
	ds_write_b64 v89, v[0:1] offset:5184
	s_waitcnt vmcnt(5)
	v_mul_f32_e32 v0, v5, v49
	v_mul_f32_e32 v1, v4, v49
	v_fmac_f32_e32 v0, v4, v48
	v_fma_f32 v1, v5, v48, -v1
	ds_write_b64 v89, v[0:1] offset:8640
	;; [unrolled: 6-line block ×5, first 2 shown]
	s_waitcnt lgkmcnt(0)
	s_barrier
	ds_read2_b64 v[0:3], v89 offset1:216
	ds_read2_b64 v[8:11], v93 offset0:32 offset1:248
	ds_read2_b64 v[4:7], v94 offset0:16 offset1:232
	ds_read2_b64 v[12:15], v91 offset1:216
	ds_read2_b64 v[16:19], v92 offset0:16 offset1:232
	ds_read2_b64 v[21:24], v90 offset0:16 offset1:232
	s_waitcnt lgkmcnt(0)
	v_add_f32_e32 v25, v0, v8
	v_add_f32_e32 v26, v25, v12
	;; [unrolled: 1-line block ×3, first 2 shown]
	v_fma_f32 v0, -0.5, v25, v0
	v_sub_f32_e32 v25, v9, v13
	v_mov_b32_e32 v28, v0
	v_fmac_f32_e32 v28, 0x3f5db3d7, v25
	v_fmac_f32_e32 v0, 0xbf5db3d7, v25
	v_add_f32_e32 v25, v9, v13
	v_fma_f32 v36, -0.5, v25, v1
	v_add_f32_e32 v25, v4, v16
	v_add_f32_e32 v30, v25, v21
	;; [unrolled: 1-line block ×3, first 2 shown]
	v_fma_f32 v4, -0.5, v25, v4
	v_sub_f32_e32 v25, v17, v22
	v_mov_b32_e32 v32, v4
	v_fmac_f32_e32 v32, 0x3f5db3d7, v25
	v_fmac_f32_e32 v4, 0xbf5db3d7, v25
	v_add_f32_e32 v25, v17, v22
	v_fma_f32 v34, -0.5, v25, v5
	v_sub_f32_e32 v16, v16, v21
	v_mov_b32_e32 v21, v34
	v_fmac_f32_e32 v34, 0x3f5db3d7, v16
	v_mul_f32_e32 v35, -0.5, v4
	v_fmac_f32_e32 v35, 0x3f5db3d7, v34
	v_fmac_f32_e32 v21, 0xbf5db3d7, v16
	v_add_f32_e32 v29, v0, v35
	v_sub_f32_e32 v35, v0, v35
	v_sub_f32_e32 v0, v8, v12
	v_mov_b32_e32 v8, v36
	v_mul_f32_e32 v16, 0x3f5db3d7, v21
	v_fmac_f32_e32 v8, 0xbf5db3d7, v0
	v_fmac_f32_e32 v36, 0x3f5db3d7, v0
	v_add_f32_e32 v0, v1, v9
	v_mul_f32_e32 v1, 0xbf5db3d7, v32
	v_fmac_f32_e32 v16, 0.5, v32
	v_fmac_f32_e32 v1, 0.5, v21
	v_add_f32_e32 v27, v28, v16
	v_sub_f32_e32 v33, v28, v16
	v_add_f32_e32 v5, v5, v17
	v_add_f32_e32 v28, v8, v1
	v_mul_f32_e32 v9, -0.5, v34
	v_sub_f32_e32 v34, v8, v1
	v_add_f32_e32 v1, v10, v14
	v_add_f32_e32 v0, v0, v13
	;; [unrolled: 1-line block ×3, first 2 shown]
	v_fma_f32 v1, -0.5, v1, v2
	v_add_f32_e32 v25, v26, v30
	v_sub_f32_e32 v31, v26, v30
	v_add_f32_e32 v26, v0, v5
	v_sub_f32_e32 v32, v0, v5
	;; [unrolled: 2-line block ×3, first 2 shown]
	v_mov_b32_e32 v12, v1
	v_fmac_f32_e32 v12, 0x3f5db3d7, v2
	v_fmac_f32_e32 v1, 0xbf5db3d7, v2
	v_add_f32_e32 v2, v3, v11
	v_add_f32_e32 v13, v2, v15
	;; [unrolled: 1-line block ×3, first 2 shown]
	v_fmac_f32_e32 v9, 0xbf5db3d7, v4
	v_fmac_f32_e32 v3, -0.5, v2
	v_add_f32_e32 v4, v18, v23
	v_add_f32_e32 v0, v0, v14
	v_sub_f32_e32 v2, v10, v14
	v_mov_b32_e32 v14, v3
	v_fma_f32 v5, -0.5, v4, v6
	v_fmac_f32_e32 v14, 0xbf5db3d7, v2
	v_fmac_f32_e32 v3, 0x3f5db3d7, v2
	v_add_f32_e32 v2, v6, v18
	v_sub_f32_e32 v4, v19, v24
	v_mov_b32_e32 v6, v5
	v_fmac_f32_e32 v6, 0x3f5db3d7, v4
	v_fmac_f32_e32 v5, 0xbf5db3d7, v4
	v_add_f32_e32 v4, v7, v19
	v_add_f32_e32 v15, v4, v24
	;; [unrolled: 1-line block ×3, first 2 shown]
	v_fmac_f32_e32 v7, -0.5, v4
	v_sub_f32_e32 v4, v18, v23
	v_mov_b32_e32 v11, v7
	v_fmac_f32_e32 v11, 0xbf5db3d7, v4
	v_mul_f32_e32 v16, 0x3f5db3d7, v11
	v_add_f32_e32 v2, v2, v23
	v_fmac_f32_e32 v16, 0.5, v6
	v_fmac_f32_e32 v7, 0x3f5db3d7, v4
	v_add_f32_e32 v8, v0, v2
	v_add_f32_e32 v10, v12, v16
	v_mul_f32_e32 v18, 0xbf5db3d7, v6
	v_sub_f32_e32 v6, v0, v2
	v_sub_f32_e32 v0, v12, v16
	v_mul_lo_u16_e32 v12, 6, v88
	v_mul_f32_e32 v17, -0.5, v5
	v_fmac_f32_e32 v18, 0.5, v11
	v_mul_f32_e32 v19, -0.5, v7
	v_lshlrev_b32_e32 v99, 3, v12
	v_mul_u32_u24_e32 v12, 6, v20
	v_add_f32_e32 v30, v36, v9
	v_sub_f32_e32 v36, v36, v9
	v_fmac_f32_e32 v17, 0x3f5db3d7, v7
	v_add_f32_e32 v9, v13, v15
	v_add_f32_e32 v11, v14, v18
	v_fmac_f32_e32 v19, 0xbf5db3d7, v5
	v_lshlrev_b32_e32 v97, 3, v12
	v_add_f32_e32 v4, v1, v17
	v_add_f32_e32 v5, v3, v19
	v_sub_f32_e32 v2, v1, v17
	v_sub_f32_e32 v7, v13, v15
	;; [unrolled: 1-line block ×4, first 2 shown]
	s_barrier
	ds_write_b128 v99, v[25:28]
	ds_write_b128 v99, v[29:32] offset:16
	ds_write_b128 v99, v[33:36] offset:32
	ds_write_b128 v97, v[8:11]
	ds_write_b128 v97, v[4:7] offset:16
	ds_write_b128 v97, v[0:3] offset:32
	v_mul_lo_u16_sdwa v0, v88, s8 dst_sel:DWORD dst_unused:UNUSED_PAD src0_sel:BYTE_0 src1_sel:DWORD
	v_lshrrev_b16_e32 v29, 10, v0
	v_mul_lo_u16_e32 v0, 6, v29
	v_sub_u16_e32 v0, v88, v0
	v_and_b32_e32 v30, 0xff, v0
	v_mad_u64_u32 v[16:17], s[8:9], v30, 40, s[10:11]
	s_mov_b32 s8, 0xaaab
	v_mul_u32_u24_sdwa v0, v20, s8 dst_sel:DWORD dst_unused:UNUSED_PAD src0_sel:WORD_0 src1_sel:DWORD
	v_lshrrev_b32_e32 v33, 18, v0
	s_waitcnt lgkmcnt(0)
	s_barrier
	global_load_dwordx4 v[8:11], v[16:17], off
	v_mul_lo_u16_e32 v0, 6, v33
	v_sub_u16_e32 v34, v20, v0
	v_mul_lo_u16_e32 v0, 40, v34
	v_mov_b32_e32 v35, s11
	v_add_co_u32_e32 v18, vcc, s10, v0
	v_addc_co_u32_e32 v19, vcc, 0, v35, vcc
	global_load_dwordx4 v[12:15], v[18:19], off
	global_load_dwordx4 v[4:7], v[16:17], off offset:16
	global_load_dwordx4 v[0:3], v[18:19], off offset:16
	global_load_dwordx2 v[67:68], v[16:17], off offset:32
	global_load_dwordx2 v[65:66], v[18:19], off offset:32
	ds_read2_b64 v[16:19], v94 offset0:16 offset1:232
	ds_read2_b64 v[21:24], v93 offset0:32 offset1:248
	;; [unrolled: 1-line block ×3, first 2 shown]
	s_waitcnt vmcnt(5) lgkmcnt(2)
	v_mul_f32_e32 v31, v17, v9
	v_fma_f32 v31, v16, v8, -v31
	v_mul_f32_e32 v32, v16, v9
	v_fmac_f32_e32 v32, v17, v8
	s_waitcnt lgkmcnt(1)
	v_mul_f32_e32 v39, v21, v11
	s_waitcnt vmcnt(4)
	v_mul_f32_e32 v16, v19, v13
	v_fma_f32 v36, v18, v12, -v16
	v_mul_f32_e32 v16, v22, v11
	v_fma_f32 v38, v21, v10, -v16
	v_mul_f32_e32 v16, v24, v15
	v_mul_f32_e32 v37, v18, v13
	v_fma_f32 v69, v23, v14, -v16
	s_waitcnt vmcnt(3) lgkmcnt(0)
	v_mul_f32_e32 v16, v26, v5
	v_fmac_f32_e32 v37, v19, v12
	v_fma_f32 v71, v25, v4, -v16
	ds_read2_b64 v[16:19], v91 offset1:216
	v_mul_f32_e32 v25, v25, v5
	s_waitcnt vmcnt(2)
	v_mul_f32_e32 v21, v28, v1
	v_mul_f32_e32 v70, v23, v15
	v_fmac_f32_e32 v25, v26, v4
	v_fma_f32 v26, v27, v0, -v21
	v_mul_f32_e32 v27, v27, v1
	s_waitcnt lgkmcnt(0)
	v_mul_f32_e32 v21, v17, v7
	v_fmac_f32_e32 v39, v22, v10
	v_fmac_f32_e32 v70, v24, v14
	;; [unrolled: 1-line block ×3, first 2 shown]
	v_fma_f32 v28, v16, v6, -v21
	ds_read2_b64 v[21:24], v90 offset0:16 offset1:232
	v_mul_f32_e32 v72, v16, v7
	v_mul_f32_e32 v16, v19, v3
	v_fma_f32 v73, v18, v2, -v16
	v_mul_f32_e32 v74, v18, v3
	s_waitcnt vmcnt(1) lgkmcnt(0)
	v_mul_f32_e32 v16, v22, v68
	v_fmac_f32_e32 v72, v17, v6
	v_fmac_f32_e32 v74, v19, v2
	v_fma_f32 v75, v21, v67, -v16
	ds_read2_b64 v[16:19], v89 offset1:216
	v_mul_f32_e32 v21, v21, v68
	v_fmac_f32_e32 v21, v22, v67
	s_waitcnt vmcnt(0)
	v_mul_f32_e32 v22, v24, v66
	v_fma_f32 v76, v23, v65, -v22
	v_mul_f32_e32 v77, v23, v66
	s_waitcnt lgkmcnt(0)
	v_add_f32_e32 v22, v17, v39
	v_fmac_f32_e32 v77, v24, v65
	v_add_f32_e32 v23, v22, v72
	v_sub_f32_e32 v24, v39, v72
	v_add_f32_e32 v22, v39, v72
	v_add_f32_e32 v39, v16, v38
	;; [unrolled: 1-line block ×5, first 2 shown]
	v_sub_f32_e32 v28, v38, v28
	v_add_f32_e32 v38, v31, v71
	v_fmac_f32_e32 v31, -0.5, v78
	v_add_f32_e32 v78, v32, v25
	v_add_f32_e32 v78, v78, v21
	v_sub_f32_e32 v79, v25, v21
	v_add_f32_e32 v21, v25, v21
	v_fmac_f32_e32 v32, -0.5, v21
	v_add_f32_e32 v25, v38, v75
	v_sub_f32_e32 v38, v71, v75
	v_mov_b32_e32 v21, v31
	v_mov_b32_e32 v71, v32
	v_fmac_f32_e32 v21, 0x3f5db3d7, v79
	v_fmac_f32_e32 v71, 0xbf5db3d7, v38
	v_mul_f32_e32 v75, 0x3f5db3d7, v71
	v_mul_f32_e32 v80, 0xbf5db3d7, v21
	v_fmac_f32_e32 v75, 0.5, v21
	v_fmac_f32_e32 v80, 0.5, v71
	v_mul_u32_u24_e32 v21, 36, v29
	v_fma_f32 v29, -0.5, v72, v16
	v_fma_f32 v71, -0.5, v22, v17
	v_add_lshl_u32 v98, v21, v30, 3
	v_mov_b32_e32 v30, v29
	v_mov_b32_e32 v72, v71
	v_fmac_f32_e32 v30, 0x3f5db3d7, v24
	v_fmac_f32_e32 v72, 0xbf5db3d7, v28
	v_add_f32_e32 v16, v39, v25
	v_add_f32_e32 v17, v23, v78
	;; [unrolled: 1-line block ×4, first 2 shown]
	v_fmac_f32_e32 v31, 0xbf5db3d7, v79
	v_fmac_f32_e32 v32, 0x3f5db3d7, v38
	s_barrier
	ds_write2_b64 v98, v[16:17], v[21:22] offset1:6
	v_sub_f32_e32 v17, v23, v78
	v_fmac_f32_e32 v29, 0xbf5db3d7, v24
	v_mul_f32_e32 v23, -0.5, v31
	v_mul_f32_e32 v24, -0.5, v32
	v_fmac_f32_e32 v71, 0x3f5db3d7, v28
	v_fmac_f32_e32 v23, 0x3f5db3d7, v32
	;; [unrolled: 1-line block ×3, first 2 shown]
	v_sub_f32_e32 v16, v39, v25
	v_add_f32_e32 v21, v29, v23
	v_add_f32_e32 v22, v71, v24
	ds_write2_b64 v98, v[21:22], v[16:17] offset0:12 offset1:18
	v_add_f32_e32 v16, v70, v74
	v_add_f32_e32 v25, v19, v70
	v_fmac_f32_e32 v19, -0.5, v16
	v_add_f32_e32 v16, v26, v76
	v_add_f32_e32 v28, v36, v26
	v_fmac_f32_e32 v36, -0.5, v16
	;; [unrolled: 3-line block ×3, first 2 shown]
	v_sub_f32_e32 v78, v27, v77
	v_sub_f32_e32 v81, v26, v76
	v_add_f32_e32 v16, v69, v73
	v_mov_b32_e32 v79, v36
	v_fmac_f32_e32 v36, 0xbf5db3d7, v78
	v_mov_b32_e32 v82, v37
	v_fmac_f32_e32 v37, 0x3f5db3d7, v81
	v_fma_f32 v32, -0.5, v16, v18
	v_add_f32_e32 v38, v18, v69
	v_sub_f32_e32 v39, v69, v73
	v_mul_f32_e32 v16, -0.5, v37
	v_sub_f32_e32 v23, v29, v23
	v_mul_f32_e32 v18, -0.5, v36
	v_sub_f32_e32 v29, v70, v74
	v_mov_b32_e32 v69, v19
	v_fmac_f32_e32 v19, 0x3f5db3d7, v39
	v_fmac_f32_e32 v16, 0xbf5db3d7, v36
	v_sub_f32_e32 v21, v30, v75
	v_fmac_f32_e32 v18, 0x3f5db3d7, v37
	v_mov_b32_e32 v36, v32
	v_fmac_f32_e32 v32, 0xbf5db3d7, v29
	v_add_f32_e32 v27, v38, v73
	v_add_f32_e32 v30, v25, v74
	v_add_f32_e32 v28, v28, v76
	v_add_f32_e32 v31, v31, v77
	v_fmac_f32_e32 v79, 0x3f5db3d7, v78
	v_fmac_f32_e32 v82, 0xbf5db3d7, v81
	v_add_f32_e32 v17, v19, v16
	v_sub_f32_e32 v19, v19, v16
	v_sub_f32_e32 v22, v72, v80
	;; [unrolled: 1-line block ×3, first 2 shown]
	v_add_f32_e32 v16, v32, v18
	v_sub_f32_e32 v18, v32, v18
	v_add_f32_e32 v25, v27, v28
	v_add_f32_e32 v26, v30, v31
	v_sub_f32_e32 v27, v27, v28
	v_sub_f32_e32 v28, v30, v31
	v_mul_f32_e32 v31, 0x3f5db3d7, v82
	v_mul_f32_e32 v32, 0xbf5db3d7, v79
	v_fmac_f32_e32 v36, 0x3f5db3d7, v29
	v_fmac_f32_e32 v69, 0xbf5db3d7, v39
	v_fmac_f32_e32 v31, 0.5, v79
	v_fmac_f32_e32 v32, 0.5, v82
	ds_write2_b64 v98, v[21:22], v[23:24] offset0:24 offset1:30
	v_mad_legacy_u16 v21, v33, 36, v34
	v_add_f32_e32 v29, v36, v31
	v_add_f32_e32 v30, v69, v32
	v_lshlrev_b32_e32 v101, 3, v21
	v_sub_f32_e32 v31, v36, v31
	v_sub_f32_e32 v32, v69, v32
	ds_write2_b64 v101, v[25:26], v[29:30] offset1:6
	ds_write2_b64 v101, v[16:17], v[27:28] offset0:12 offset1:18
	ds_write2_b64 v101, v[31:32], v[18:19] offset0:24 offset1:30
	v_mov_b32_e32 v16, 57
	v_mul_lo_u16_sdwa v16, v88, v16 dst_sel:DWORD dst_unused:UNUSED_PAD src0_sel:BYTE_0 src1_sel:DWORD
	v_lshrrev_b16_e32 v73, 11, v16
	v_mul_lo_u16_e32 v16, 36, v73
	v_sub_u16_e32 v16, v88, v16
	v_and_b32_e32 v74, 0xff, v16
	v_mad_u64_u32 v[32:33], s[8:9], v74, 40, s[10:11]
	s_waitcnt lgkmcnt(0)
	s_barrier
	global_load_dwordx4 v[16:19], v[32:33], off offset:240
	s_mov_b32 s8, 0xe38f
	v_mul_u32_u24_sdwa v21, v20, s8 dst_sel:DWORD dst_unused:UNUSED_PAD src0_sel:WORD_0 src1_sel:DWORD
	v_lshrrev_b32_e32 v75, 21, v21
	v_mul_lo_u16_e32 v21, 36, v75
	v_sub_u16_e32 v76, v20, v21
	v_mul_lo_u16_e32 v20, 40, v76
	v_add_co_u32_e32 v34, vcc, s10, v20
	v_addc_co_u32_e32 v35, vcc, 0, v35, vcc
	global_load_dwordx4 v[24:27], v[34:35], off offset:240
	global_load_dwordx4 v[28:31], v[32:33], off offset:256
	;; [unrolled: 1-line block ×3, first 2 shown]
	global_load_dwordx2 v[71:72], v[32:33], off offset:272
	global_load_dwordx2 v[69:70], v[34:35], off offset:272
	ds_read2_b64 v[32:35], v94 offset0:16 offset1:232
	v_mad_legacy_u16 v75, v75, s16, v76
	s_waitcnt vmcnt(5) lgkmcnt(0)
	v_mul_f32_e32 v36, v33, v17
	v_fma_f32 v77, v32, v16, -v36
	ds_read2_b64 v[36:39], v93 offset0:32 offset1:248
	v_mul_f32_e32 v78, v32, v17
	v_fmac_f32_e32 v78, v33, v16
	s_waitcnt vmcnt(4)
	v_mul_f32_e32 v32, v35, v25
	v_fma_f32 v79, v34, v24, -v32
	v_mul_f32_e32 v80, v34, v25
	s_waitcnt lgkmcnt(0)
	v_mul_f32_e32 v32, v37, v19
	v_fmac_f32_e32 v80, v35, v24
	v_fma_f32 v81, v36, v18, -v32
	ds_read2_b64 v[32:35], v92 offset0:16 offset1:232
	v_mul_f32_e32 v82, v36, v19
	v_mul_f32_e32 v36, v39, v27
	v_fma_f32 v83, v38, v26, -v36
	v_mul_f32_e32 v84, v38, v27
	s_waitcnt vmcnt(3) lgkmcnt(0)
	v_mul_f32_e32 v36, v33, v29
	v_fmac_f32_e32 v82, v37, v18
	v_fmac_f32_e32 v84, v39, v26
	v_fma_f32 v85, v32, v28, -v36
	ds_read2_b64 v[36:39], v91 offset1:216
	v_mul_f32_e32 v86, v32, v29
	s_waitcnt vmcnt(2)
	v_mul_f32_e32 v32, v35, v21
	v_fma_f32 v102, v34, v20, -v32
	v_mul_f32_e32 v103, v34, v21
	s_waitcnt lgkmcnt(0)
	v_mul_f32_e32 v32, v37, v31
	v_fmac_f32_e32 v86, v33, v28
	v_fmac_f32_e32 v103, v35, v20
	v_fma_f32 v100, v36, v30, -v32
	ds_read2_b64 v[32:35], v90 offset0:16 offset1:232
	v_mul_f32_e32 v104, v36, v31
	v_mul_f32_e32 v36, v39, v23
	v_fma_f32 v105, v38, v22, -v36
	v_mul_f32_e32 v106, v38, v23
	s_waitcnt vmcnt(1) lgkmcnt(0)
	v_mul_f32_e32 v36, v33, v72
	v_fmac_f32_e32 v104, v37, v30
	v_fmac_f32_e32 v106, v39, v22
	v_fma_f32 v107, v32, v71, -v36
	ds_read2_b64 v[36:39], v89 offset1:216
	v_mul_f32_e32 v32, v32, v72
	v_fmac_f32_e32 v32, v33, v71
	s_waitcnt vmcnt(0)
	v_mul_f32_e32 v33, v35, v70
	v_fma_f32 v108, v34, v69, -v33
	v_mul_f32_e32 v109, v34, v70
	s_waitcnt lgkmcnt(0)
	v_add_f32_e32 v33, v37, v82
	v_add_f32_e32 v34, v36, v81
	;; [unrolled: 1-line block ×3, first 2 shown]
	v_sub_f32_e32 v111, v82, v104
	v_add_f32_e32 v33, v82, v104
	v_add_f32_e32 v82, v34, v100
	;; [unrolled: 1-line block ×3, first 2 shown]
	v_sub_f32_e32 v81, v81, v100
	v_add_f32_e32 v100, v85, v107
	v_fmac_f32_e32 v109, v35, v69
	v_add_f32_e32 v35, v77, v85
	v_fmac_f32_e32 v77, -0.5, v100
	v_add_f32_e32 v100, v78, v86
	v_add_f32_e32 v104, v100, v32
	v_sub_f32_e32 v112, v86, v32
	v_add_f32_e32 v32, v86, v32
	v_fmac_f32_e32 v78, -0.5, v32
	v_add_f32_e32 v86, v35, v107
	v_sub_f32_e32 v85, v85, v107
	v_mov_b32_e32 v35, v78
	v_mov_b32_e32 v32, v77
	v_fmac_f32_e32 v35, 0xbf5db3d7, v85
	v_fmac_f32_e32 v32, 0x3f5db3d7, v112
	v_mul_f32_e32 v107, 0x3f5db3d7, v35
	v_fmac_f32_e32 v107, 0.5, v32
	v_mul_f32_e32 v113, 0xbf5db3d7, v32
	v_mul_u32_u24_e32 v32, 0xd8, v73
	v_fma_f32 v37, -0.5, v33, v37
	v_add_lshl_u32 v100, v32, v74, 3
	v_fma_f32 v36, -0.5, v34, v36
	v_mov_b32_e32 v74, v37
	v_fmac_f32_e32 v77, 0xbf5db3d7, v112
	v_mov_b32_e32 v73, v36
	v_fmac_f32_e32 v74, 0xbf5db3d7, v81
	v_fmac_f32_e32 v37, 0x3f5db3d7, v81
	v_fmac_f32_e32 v78, 0x3f5db3d7, v85
	v_mul_f32_e32 v81, -0.5, v77
	v_fmac_f32_e32 v113, 0.5, v35
	v_fmac_f32_e32 v73, 0x3f5db3d7, v111
	v_fmac_f32_e32 v81, 0x3f5db3d7, v78
	v_mul_f32_e32 v78, -0.5, v78
	v_add_f32_e32 v32, v82, v86
	v_add_f32_e32 v33, v110, v104
	;; [unrolled: 1-line block ×4, first 2 shown]
	v_fmac_f32_e32 v36, 0xbf5db3d7, v111
	v_fmac_f32_e32 v78, 0xbf5db3d7, v77
	s_barrier
	ds_write2_b64 v100, v[32:33], v[34:35] offset1:36
	v_sub_f32_e32 v32, v82, v86
	v_sub_f32_e32 v33, v110, v104
	v_add_f32_e32 v34, v36, v81
	v_add_f32_e32 v35, v37, v78
	ds_write2_b64 v100, v[34:35], v[32:33] offset0:72 offset1:108
	v_sub_f32_e32 v32, v73, v107
	v_sub_f32_e32 v33, v74, v113
	;; [unrolled: 1-line block ×4, first 2 shown]
	ds_write2_b64 v100, v[32:33], v[34:35] offset0:144 offset1:180
	v_add_f32_e32 v34, v102, v108
	v_add_f32_e32 v32, v39, v84
	;; [unrolled: 1-line block ×3, first 2 shown]
	v_fmac_f32_e32 v79, -0.5, v34
	v_add_f32_e32 v34, v80, v103
	v_add_f32_e32 v36, v32, v106
	;; [unrolled: 1-line block ×5, first 2 shown]
	v_fmac_f32_e32 v39, -0.5, v32
	v_add_f32_e32 v32, v38, v83
	v_fmac_f32_e32 v80, -0.5, v34
	v_add_f32_e32 v73, v32, v105
	v_add_f32_e32 v32, v83, v105
	v_sub_f32_e32 v78, v103, v109
	v_add_f32_e32 v81, v33, v108
	v_sub_f32_e32 v82, v102, v108
	v_mov_b32_e32 v33, v79
	v_mov_b32_e32 v34, v80
	v_fmac_f32_e32 v33, 0x3f5db3d7, v78
	v_fmac_f32_e32 v34, 0xbf5db3d7, v82
	v_fma_f32 v38, -0.5, v32, v38
	v_sub_f32_e32 v37, v84, v106
	v_sub_f32_e32 v74, v83, v105
	v_mul_f32_e32 v83, 0x3f5db3d7, v34
	v_mul_f32_e32 v84, 0xbf5db3d7, v33
	v_mov_b32_e32 v76, v38
	v_mov_b32_e32 v85, v39
	v_fmac_f32_e32 v83, 0.5, v33
	v_fmac_f32_e32 v84, 0.5, v34
	v_fmac_f32_e32 v76, 0x3f5db3d7, v37
	v_fmac_f32_e32 v85, 0xbf5db3d7, v74
	v_add_f32_e32 v32, v73, v81
	v_add_f32_e32 v33, v36, v77
	;; [unrolled: 1-line block ×4, first 2 shown]
	v_lshlrev_b32_e32 v102, 3, v75
	v_fmac_f32_e32 v79, 0xbf5db3d7, v78
	v_fmac_f32_e32 v80, 0x3f5db3d7, v82
	ds_write2_b64 v102, v[32:33], v[34:35] offset1:36
	v_sub_f32_e32 v33, v36, v77
	v_fmac_f32_e32 v38, 0xbf5db3d7, v37
	v_mul_f32_e32 v36, -0.5, v79
	v_mul_f32_e32 v37, -0.5, v80
	v_fmac_f32_e32 v39, 0x3f5db3d7, v74
	v_fmac_f32_e32 v36, 0x3f5db3d7, v80
	;; [unrolled: 1-line block ×3, first 2 shown]
	v_sub_f32_e32 v32, v73, v81
	v_add_f32_e32 v34, v38, v36
	v_add_f32_e32 v35, v39, v37
	ds_write2_b64 v102, v[34:35], v[32:33] offset0:72 offset1:108
	v_sub_f32_e32 v34, v76, v83
	v_sub_f32_e32 v35, v85, v84
	v_mad_u64_u32 v[83:84], s[8:9], v88, 40, s[10:11]
	v_sub_f32_e32 v33, v39, v37
	v_sub_f32_e32 v32, v38, v36
	ds_write2_b64 v102, v[34:35], v[32:33] offset0:144 offset1:180
	s_waitcnt lgkmcnt(0)
	s_barrier
	global_load_dwordx4 v[32:35], v[83:84], off offset:1680
	global_load_dwordx4 v[36:39], v[83:84], off offset:1696
	global_load_dwordx2 v[73:74], v[83:84], off offset:1712
	ds_read2_b64 v[75:78], v94 offset0:16 offset1:232
	s_waitcnt vmcnt(2) lgkmcnt(0)
	v_mul_f32_e32 v79, v76, v33
	v_fma_f32 v85, v75, v32, -v79
	ds_read2_b64 v[79:82], v93 offset0:32 offset1:248
	v_mul_f32_e32 v86, v75, v33
	v_mul_f32_e32 v75, v78, v33
	v_fma_f32 v103, v77, v32, -v75
	v_mul_f32_e32 v104, v77, v33
	s_waitcnt lgkmcnt(0)
	v_mul_f32_e32 v75, v80, v35
	v_fmac_f32_e32 v86, v76, v32
	v_fmac_f32_e32 v104, v78, v32
	v_fma_f32 v105, v79, v34, -v75
	ds_read2_b64 v[75:78], v92 offset0:16 offset1:232
	v_mul_f32_e32 v106, v79, v35
	v_mul_f32_e32 v79, v82, v35
	v_fma_f32 v107, v81, v34, -v79
	v_mul_f32_e32 v108, v81, v35
	s_waitcnt vmcnt(1) lgkmcnt(0)
	v_mul_f32_e32 v79, v76, v37
	v_fmac_f32_e32 v106, v80, v34
	v_fmac_f32_e32 v108, v82, v34
	v_fma_f32 v109, v75, v36, -v79
	ds_read2_b64 v[79:82], v91 offset1:216
	v_mul_f32_e32 v110, v75, v37
	v_mul_f32_e32 v75, v78, v37
	v_fma_f32 v111, v77, v36, -v75
	v_mul_f32_e32 v112, v77, v37
	s_waitcnt lgkmcnt(0)
	v_mul_f32_e32 v75, v80, v39
	v_fmac_f32_e32 v110, v76, v36
	v_fmac_f32_e32 v112, v78, v36
	v_fma_f32 v113, v79, v38, -v75
	ds_read2_b64 v[75:78], v90 offset0:16 offset1:232
	v_mul_f32_e32 v114, v79, v39
	v_mul_f32_e32 v79, v82, v39
	v_fma_f32 v115, v81, v38, -v79
	v_mul_f32_e32 v116, v81, v39
	s_waitcnt vmcnt(0) lgkmcnt(0)
	v_mul_f32_e32 v79, v76, v74
	v_fmac_f32_e32 v114, v80, v38
	v_fmac_f32_e32 v116, v82, v38
	v_fma_f32 v117, v75, v73, -v79
	ds_read2_b64 v[79:82], v89 offset1:216
	v_mul_f32_e32 v75, v75, v74
	v_fmac_f32_e32 v75, v76, v73
	v_mul_f32_e32 v76, v78, v74
	v_fma_f32 v118, v77, v73, -v76
	v_mul_f32_e32 v119, v77, v74
	s_waitcnt lgkmcnt(0)
	v_add_f32_e32 v76, v80, v106
	v_add_f32_e32 v77, v79, v105
	;; [unrolled: 1-line block ×3, first 2 shown]
	v_sub_f32_e32 v121, v106, v114
	v_add_f32_e32 v76, v106, v114
	v_add_f32_e32 v106, v77, v113
	;; [unrolled: 1-line block ×3, first 2 shown]
	v_sub_f32_e32 v105, v105, v113
	v_add_f32_e32 v113, v109, v117
	v_fmac_f32_e32 v119, v78, v73
	v_add_f32_e32 v78, v85, v109
	v_fmac_f32_e32 v85, -0.5, v113
	v_add_f32_e32 v113, v86, v110
	v_add_f32_e32 v113, v113, v75
	v_sub_f32_e32 v114, v110, v75
	v_add_f32_e32 v75, v110, v75
	v_fmac_f32_e32 v86, -0.5, v75
	v_add_f32_e32 v110, v78, v117
	v_sub_f32_e32 v109, v109, v117
	v_mov_b32_e32 v75, v85
	v_mov_b32_e32 v78, v86
	v_fma_f32 v80, -0.5, v76, v80
	v_fmac_f32_e32 v75, 0x3f5db3d7, v114
	v_fmac_f32_e32 v78, 0xbf5db3d7, v109
	v_fma_f32 v79, -0.5, v77, v79
	v_mov_b32_e32 v124, v80
	v_fmac_f32_e32 v85, 0xbf5db3d7, v114
	v_mul_f32_e32 v117, 0x3f5db3d7, v78
	v_mul_f32_e32 v122, 0xbf5db3d7, v75
	v_mov_b32_e32 v123, v79
	v_fmac_f32_e32 v124, 0xbf5db3d7, v105
	v_fmac_f32_e32 v80, 0x3f5db3d7, v105
	;; [unrolled: 1-line block ×3, first 2 shown]
	v_mul_f32_e32 v105, -0.5, v85
	v_fmac_f32_e32 v117, 0.5, v75
	v_fmac_f32_e32 v122, 0.5, v78
	v_fmac_f32_e32 v123, 0x3f5db3d7, v121
	v_fmac_f32_e32 v105, 0x3f5db3d7, v86
	v_mul_f32_e32 v86, -0.5, v86
	v_add_f32_e32 v75, v106, v110
	v_add_f32_e32 v76, v120, v113
	;; [unrolled: 1-line block ×4, first 2 shown]
	v_fmac_f32_e32 v79, 0xbf5db3d7, v121
	v_fmac_f32_e32 v86, 0xbf5db3d7, v85
	s_barrier
	ds_write2_b64 v89, v[75:76], v[77:78] offset1:216
	v_sub_f32_e32 v75, v106, v110
	v_sub_f32_e32 v76, v120, v113
	v_add_f32_e32 v77, v79, v105
	v_add_f32_e32 v78, v80, v86
	ds_write2_b64 v94, v[77:78], v[75:76] offset0:16 offset1:232
	v_sub_f32_e32 v75, v123, v117
	v_sub_f32_e32 v76, v124, v122
	v_sub_f32_e32 v77, v79, v105
	v_sub_f32_e32 v78, v80, v86
	ds_write2_b64 v93, v[75:76], v[77:78] offset0:32 offset1:248
	v_add_f32_e32 v77, v111, v118
	v_add_f32_e32 v75, v82, v108
	;; [unrolled: 1-line block ×3, first 2 shown]
	v_fmac_f32_e32 v103, -0.5, v77
	v_add_f32_e32 v77, v104, v112
	v_add_f32_e32 v79, v75, v116
	;; [unrolled: 1-line block ×5, first 2 shown]
	v_fmac_f32_e32 v82, -0.5, v75
	v_add_f32_e32 v75, v81, v107
	v_fmac_f32_e32 v104, -0.5, v77
	v_sub_f32_e32 v80, v108, v116
	v_add_f32_e32 v85, v75, v115
	v_add_f32_e32 v75, v107, v115
	v_sub_f32_e32 v86, v107, v115
	v_sub_f32_e32 v106, v112, v119
	v_add_f32_e32 v107, v76, v118
	v_sub_f32_e32 v108, v111, v118
	v_mov_b32_e32 v76, v103
	v_mov_b32_e32 v77, v104
	v_fmac_f32_e32 v76, 0x3f5db3d7, v106
	v_fmac_f32_e32 v77, 0xbf5db3d7, v108
	v_fma_f32 v81, -0.5, v75, v81
	v_mul_f32_e32 v109, 0x3f5db3d7, v77
	v_mul_f32_e32 v110, 0xbf5db3d7, v76
	v_mov_b32_e32 v111, v81
	v_mov_b32_e32 v112, v82
	v_fmac_f32_e32 v109, 0.5, v76
	v_fmac_f32_e32 v110, 0.5, v77
	v_fmac_f32_e32 v111, 0x3f5db3d7, v80
	v_fmac_f32_e32 v112, 0xbf5db3d7, v86
	v_add_f32_e32 v75, v85, v107
	v_add_f32_e32 v76, v79, v105
	;; [unrolled: 1-line block ×4, first 2 shown]
	v_fmac_f32_e32 v103, 0xbf5db3d7, v106
	v_fmac_f32_e32 v104, 0x3f5db3d7, v108
	ds_write2_b64 v92, v[75:76], v[77:78] offset0:16 offset1:232
	v_sub_f32_e32 v76, v79, v105
	v_fmac_f32_e32 v81, 0xbf5db3d7, v80
	v_mul_f32_e32 v79, -0.5, v103
	v_mul_f32_e32 v80, -0.5, v104
	v_fmac_f32_e32 v82, 0x3f5db3d7, v86
	v_fmac_f32_e32 v79, 0x3f5db3d7, v104
	;; [unrolled: 1-line block ×3, first 2 shown]
	v_sub_f32_e32 v75, v85, v107
	v_add_f32_e32 v77, v81, v79
	v_add_f32_e32 v78, v82, v80
	ds_write2_b64 v91, v[77:78], v[75:76] offset1:216
	v_sub_f32_e32 v76, v82, v80
	v_sub_f32_e32 v75, v81, v79
	;; [unrolled: 1-line block ×4, first 2 shown]
	ds_write2_b64 v90, v[77:78], v[75:76] offset0:16 offset1:232
	v_lshlrev_b32_e32 v75, 5, v88
	v_sub_co_u32_e32 v85, vcc, v83, v75
	v_subbrev_co_u32_e32 v86, vcc, 0, v84, vcc
	v_add_co_u32_e32 v79, vcc, s7, v85
	v_addc_co_u32_e32 v80, vcc, 0, v86, vcc
	s_waitcnt lgkmcnt(0)
	s_barrier
	global_load_dwordx2 v[75:76], v[79:80], off offset:2128
	global_load_dwordx2 v[77:78], v[79:80], off offset:3856
	v_add_co_u32_e32 v83, vcc, s14, v85
	v_addc_co_u32_e32 v84, vcc, 0, v86, vcc
	global_load_dwordx2 v[79:80], v[83:84], off offset:1488
	global_load_dwordx2 v[81:82], v[83:84], off offset:3216
	v_add_co_u32_e32 v103, vcc, s6, v85
	v_addc_co_u32_e32 v104, vcc, 0, v86, vcc
	global_load_dwordx2 v[83:84], v[103:104], off offset:848
	global_load_dwordx2 v[85:86], v[103:104], off offset:2576
	ds_read2_b64 v[103:106], v92 offset0:16 offset1:232
	s_movk_i32 s6, 0x5000
	s_waitcnt vmcnt(5) lgkmcnt(0)
	v_mul_f32_e32 v107, v104, v76
	v_fma_f32 v111, v103, v75, -v107
	ds_read2_b64 v[107:110], v91 offset1:216
	v_mul_f32_e32 v112, v103, v76
	s_waitcnt vmcnt(4)
	v_mul_f32_e32 v103, v106, v78
	v_fma_f32 v113, v105, v77, -v103
	v_mul_f32_e32 v114, v105, v78
	s_waitcnt vmcnt(3) lgkmcnt(0)
	v_mul_f32_e32 v103, v108, v80
	v_fmac_f32_e32 v112, v104, v75
	v_fmac_f32_e32 v114, v106, v77
	v_fma_f32 v119, v107, v79, -v103
	ds_read2_b64 v[103:106], v90 offset0:16 offset1:232
	v_mul_f32_e32 v120, v107, v80
	s_waitcnt vmcnt(2)
	v_mul_f32_e32 v107, v110, v82
	v_fma_f32 v121, v109, v81, -v107
	v_mul_f32_e32 v122, v109, v82
	s_waitcnt vmcnt(1) lgkmcnt(0)
	v_mul_f32_e32 v107, v104, v84
	v_fmac_f32_e32 v120, v108, v79
	v_fmac_f32_e32 v122, v110, v81
	v_fma_f32 v125, v103, v83, -v107
	ds_read2_b64 v[107:110], v89 offset1:216
	v_mul_f32_e32 v126, v103, v84
	s_waitcnt vmcnt(0)
	v_mul_f32_e32 v103, v106, v86
	v_mul_f32_e32 v128, v105, v86
	v_fmac_f32_e32 v126, v104, v83
	v_fma_f32 v127, v105, v85, -v103
	v_fmac_f32_e32 v128, v106, v85
	s_waitcnt lgkmcnt(0)
	v_sub_f32_e32 v111, v107, v111
	v_sub_f32_e32 v112, v108, v112
	;; [unrolled: 1-line block ×4, first 2 shown]
	ds_read2_b64 v[103:106], v94 offset0:16 offset1:232
	v_fma_f32 v115, v107, 2.0, -v111
	v_fma_f32 v116, v108, 2.0, -v112
	;; [unrolled: 1-line block ×4, first 2 shown]
	ds_read2_b64 v[107:110], v93 offset0:32 offset1:248
	s_waitcnt lgkmcnt(1)
	v_sub_f32_e32 v119, v103, v119
	v_sub_f32_e32 v120, v104, v120
	;; [unrolled: 1-line block ×4, first 2 shown]
	v_fma_f32 v123, v103, 2.0, -v119
	v_fma_f32 v124, v104, 2.0, -v120
	;; [unrolled: 1-line block ×4, first 2 shown]
	s_waitcnt lgkmcnt(0)
	v_sub_f32_e32 v125, v107, v125
	v_add_u32_e32 v103, 0x2f00, v89
	v_sub_f32_e32 v126, v108, v126
	v_sub_f32_e32 v127, v109, v127
	;; [unrolled: 1-line block ×3, first 2 shown]
	v_fma_f32 v106, v107, 2.0, -v125
	ds_write_b64 v89, v[111:112] offset:10368
	ds_write2_b64 v89, v[115:116], v[117:118] offset1:216
	ds_write2_b64 v103, v[113:114], v[119:120] offset0:8 offset1:224
	ds_write2_b64 v94, v[123:124], v[104:105] offset0:16 offset1:232
	v_add_u32_e32 v104, 0x3c00, v89
	v_add_co_u32_e32 v105, vcc, s6, v95
	v_fma_f32 v107, v108, 2.0, -v126
	v_fma_f32 v108, v109, 2.0, -v127
	v_fma_f32 v109, v110, 2.0, -v128
	ds_write2_b64 v104, v[121:122], v[125:126] offset0:24 offset1:240
	ds_write2_b64 v93, v[106:107], v[108:109] offset0:32 offset1:248
	ds_write_b64 v89, v[127:128] offset:19008
	v_addc_co_u32_e32 v106, vcc, 0, v96, vcc
	s_waitcnt lgkmcnt(0)
	s_barrier
	global_load_dwordx2 v[109:110], v[105:106], off offset:256
	s_movk_i32 s6, 0x5100
	v_add_co_u32_e32 v105, vcc, s6, v95
	v_addc_co_u32_e32 v106, vcc, 0, v96, vcc
	s_movk_i32 s6, 0x6000
	global_load_dwordx2 v[113:114], v[105:106], off offset:1728
	v_add_co_u32_e32 v107, vcc, s6, v95
	v_addc_co_u32_e32 v108, vcc, 0, v96, vcc
	global_load_dwordx2 v[115:116], v[107:108], off offset:1344
	global_load_dwordx2 v[117:118], v[105:106], off offset:3456
	;; [unrolled: 1-line block ×3, first 2 shown]
	s_movk_i32 s6, 0x7000
	v_add_co_u32_e32 v105, vcc, s6, v95
	v_addc_co_u32_e32 v106, vcc, 0, v96, vcc
	global_load_dwordx2 v[121:122], v[105:106], off offset:704
	global_load_dwordx2 v[123:124], v[105:106], off offset:2432
	s_mov_b32 s6, 0x8000
	v_add_co_u32_e32 v105, vcc, s6, v95
	v_addc_co_u32_e32 v106, vcc, 0, v96, vcc
	global_load_dwordx2 v[125:126], v[105:106], off offset:64
	global_load_dwordx2 v[127:128], v[105:106], off offset:1792
	;; [unrolled: 1-line block ×3, first 2 shown]
	s_mov_b32 s6, 0x9000
	v_add_co_u32_e32 v95, vcc, s6, v95
	v_addc_co_u32_e32 v96, vcc, 0, v96, vcc
	global_load_dwordx2 v[131:132], v[95:96], off offset:1152
	s_nop 0
	global_load_dwordx2 v[95:96], v[95:96], off offset:2880
	ds_read2_b64 v[105:108], v89 offset1:216
	s_waitcnt vmcnt(11) lgkmcnt(0)
	v_mul_f32_e32 v111, v106, v110
	v_mul_f32_e32 v112, v105, v110
	v_fma_f32 v111, v105, v109, -v111
	v_fmac_f32_e32 v112, v106, v109
	ds_write_b64 v89, v[111:112]
	ds_read2_b64 v[109:112], v94 offset0:16 offset1:232
	s_waitcnt vmcnt(10)
	v_mul_f32_e32 v105, v108, v114
	v_fma_f32 v133, v107, v113, -v105
	v_mul_f32_e32 v134, v107, v114
	v_fmac_f32_e32 v134, v108, v113
	s_waitcnt vmcnt(8) lgkmcnt(0)
	v_mul_f32_e32 v105, v110, v118
	v_fma_f32 v113, v109, v117, -v105
	ds_read2_b64 v[105:108], v93 offset0:32 offset1:248
	v_mul_f32_e32 v114, v109, v118
	v_mul_f32_e32 v109, v112, v116
	v_fmac_f32_e32 v114, v110, v117
	v_fma_f32 v117, v111, v115, -v109
	v_mul_f32_e32 v118, v111, v116
	s_waitcnt vmcnt(7) lgkmcnt(0)
	v_mul_f32_e32 v109, v106, v120
	v_fmac_f32_e32 v118, v112, v115
	v_fma_f32 v115, v105, v119, -v109
	ds_read2_b64 v[109:112], v92 offset0:16 offset1:232
	v_mul_f32_e32 v116, v105, v120
	s_waitcnt vmcnt(6)
	v_mul_f32_e32 v105, v108, v122
	v_fmac_f32_e32 v116, v106, v119
	v_fma_f32 v119, v107, v121, -v105
	v_mul_f32_e32 v120, v107, v122
	s_waitcnt vmcnt(5) lgkmcnt(0)
	v_mul_f32_e32 v105, v110, v124
	v_fmac_f32_e32 v120, v108, v121
	v_fma_f32 v121, v109, v123, -v105
	ds_read2_b64 v[105:108], v91 offset1:216
	v_mul_f32_e32 v122, v109, v124
	s_waitcnt vmcnt(4)
	v_mul_f32_e32 v109, v112, v126
	v_fmac_f32_e32 v122, v110, v123
	v_fma_f32 v123, v111, v125, -v109
	v_mul_f32_e32 v124, v111, v126
	s_waitcnt vmcnt(3) lgkmcnt(0)
	v_mul_f32_e32 v109, v106, v128
	v_fmac_f32_e32 v124, v112, v125
	v_fma_f32 v125, v105, v127, -v109
	ds_read2_b64 v[109:112], v90 offset0:16 offset1:232
	v_mul_f32_e32 v126, v105, v128
	v_fmac_f32_e32 v126, v106, v127
	s_waitcnt vmcnt(2)
	v_mul_f32_e32 v105, v108, v130
	v_mul_f32_e32 v106, v107, v130
	v_fma_f32 v105, v107, v129, -v105
	v_fmac_f32_e32 v106, v108, v129
	s_waitcnt vmcnt(1) lgkmcnt(0)
	v_mul_f32_e32 v107, v110, v132
	v_mul_f32_e32 v108, v109, v132
	v_fma_f32 v107, v109, v131, -v107
	v_fmac_f32_e32 v108, v110, v131
	s_waitcnt vmcnt(0)
	v_mul_f32_e32 v109, v112, v96
	v_mul_f32_e32 v110, v111, v96
	v_fma_f32 v109, v111, v95, -v109
	v_fmac_f32_e32 v110, v112, v95
	v_add_u32_e32 v95, 0x600, v89
	ds_write2_b64 v95, v[133:134], v[113:114] offset0:24 offset1:240
	v_add_u32_e32 v95, 0x1400, v89
	ds_write2_b64 v95, v[117:118], v[115:116] offset0:8 offset1:224
	;; [unrolled: 2-line block ×3, first 2 shown]
	ds_write2_b64 v103, v[123:124], v[125:126] offset0:8 offset1:224
	ds_write2_b64 v104, v[105:106], v[107:108] offset0:24 offset1:240
	ds_write_b64 v89, v[109:110] offset:19008
	s_waitcnt lgkmcnt(0)
	s_barrier
	ds_read2_b64 v[105:108], v92 offset0:16 offset1:232
	ds_read2_b64 v[109:112], v90 offset0:16 offset1:232
	;; [unrolled: 1-line block ×3, first 2 shown]
	s_waitcnt lgkmcnt(1)
	v_add_f32_e32 v117, v106, v110
	v_add_f32_e32 v95, v105, v109
	s_waitcnt lgkmcnt(0)
	v_fma_f32 v133, -0.5, v117, v114
	ds_read2_b64 v[117:120], v89 offset1:216
	ds_read2_b64 v[121:124], v93 offset0:32 offset1:248
	ds_read2_b64 v[125:128], v91 offset1:216
	v_fma_f32 v95, -0.5, v95, v113
	v_sub_f32_e32 v134, v105, v109
	v_mov_b32_e32 v130, v133
	v_sub_f32_e32 v96, v106, v110
	v_mov_b32_e32 v129, v95
	v_fmac_f32_e32 v130, 0x3f5db3d7, v134
	v_fmac_f32_e32 v129, 0xbf5db3d7, v96
	v_mul_f32_e32 v135, 0xbf5db3d7, v130
	v_mul_f32_e32 v136, 0.5, v130
	v_fmac_f32_e32 v135, 0.5, v129
	v_fmac_f32_e32 v136, 0x3f5db3d7, v129
	s_waitcnt lgkmcnt(1)
	v_add_f32_e32 v129, v117, v121
	s_waitcnt lgkmcnt(0)
	v_add_f32_e32 v137, v129, v125
	v_add_f32_e32 v129, v121, v125
	v_fma_f32 v117, -0.5, v129, v117
	v_sub_f32_e32 v138, v122, v126
	v_add_f32_e32 v129, v118, v122
	v_add_f32_e32 v122, v122, v126
	v_fma_f32 v118, -0.5, v122, v118
	v_mov_b32_e32 v139, v117
	v_sub_f32_e32 v121, v121, v125
	v_mov_b32_e32 v122, v118
	v_add_f32_e32 v105, v113, v105
	v_add_f32_e32 v106, v114, v106
	v_fmac_f32_e32 v139, 0xbf5db3d7, v138
	v_add_f32_e32 v140, v129, v126
	v_fmac_f32_e32 v122, 0x3f5db3d7, v121
	v_add_f32_e32 v105, v105, v109
	v_add_f32_e32 v106, v106, v110
	;; [unrolled: 1-line block ×6, first 2 shown]
	v_fmac_f32_e32 v133, 0xbf5db3d7, v134
	s_barrier
	ds_write_b128 v99, v[129:132]
	v_sub_f32_e32 v131, v137, v105
	v_fmac_f32_e32 v95, 0x3f5db3d7, v96
	v_mul_f32_e32 v96, 0xbf5db3d7, v133
	v_mul_f32_e32 v105, -0.5, v133
	v_fmac_f32_e32 v117, 0x3f5db3d7, v138
	v_fmac_f32_e32 v118, 0xbf5db3d7, v121
	v_fmac_f32_e32 v96, -0.5, v95
	v_fmac_f32_e32 v105, 0x3f5db3d7, v95
	v_sub_f32_e32 v132, v140, v106
	v_add_f32_e32 v129, v117, v96
	v_add_f32_e32 v130, v118, v105
	ds_write_b128 v99, v[129:132] offset:16
	v_sub_f32_e32 v131, v117, v96
	v_sub_f32_e32 v114, v108, v112
	v_add_f32_e32 v117, v116, v108
	v_add_f32_e32 v108, v108, v112
	v_sub_f32_e32 v132, v118, v105
	v_add_f32_e32 v105, v120, v124
	v_add_f32_e32 v106, v124, v128
	;; [unrolled: 1-line block ×3, first 2 shown]
	v_fmac_f32_e32 v116, -0.5, v108
	v_add_f32_e32 v96, v123, v127
	v_add_f32_e32 v110, v105, v128
	;; [unrolled: 1-line block ×3, first 2 shown]
	v_sub_f32_e32 v118, v107, v111
	v_fmac_f32_e32 v120, -0.5, v106
	v_fma_f32 v113, -0.5, v113, v115
	v_mov_b32_e32 v106, v116
	v_sub_f32_e32 v129, v139, v135
	v_sub_f32_e32 v130, v122, v136
	v_add_f32_e32 v111, v105, v111
	v_mov_b32_e32 v105, v113
	v_fmac_f32_e32 v106, 0x3f5db3d7, v118
	v_fma_f32 v96, -0.5, v96, v119
	ds_write_b128 v99, v[129:132] offset:32
	v_add_f32_e32 v95, v119, v123
	v_sub_f32_e32 v99, v124, v128
	v_sub_f32_e32 v109, v123, v127
	v_add_f32_e32 v112, v117, v112
	v_fmac_f32_e32 v105, 0xbf5db3d7, v114
	v_mul_f32_e32 v115, 0xbf5db3d7, v106
	v_mul_f32_e32 v117, 0.5, v106
	v_mov_b32_e32 v119, v96
	v_mov_b32_e32 v121, v120
	v_fmac_f32_e32 v116, 0xbf5db3d7, v118
	v_add_f32_e32 v95, v95, v127
	v_fmac_f32_e32 v115, 0.5, v105
	v_fmac_f32_e32 v117, 0x3f5db3d7, v105
	v_fmac_f32_e32 v119, 0xbf5db3d7, v99
	;; [unrolled: 1-line block ×3, first 2 shown]
	v_mul_f32_e32 v118, 0xbf5db3d7, v116
	v_mul_f32_e32 v116, -0.5, v116
	v_fmac_f32_e32 v113, 0x3f5db3d7, v114
	v_add_f32_e32 v105, v95, v111
	v_add_f32_e32 v107, v119, v115
	;; [unrolled: 1-line block ×4, first 2 shown]
	v_fmac_f32_e32 v96, 0x3f5db3d7, v99
	v_fmac_f32_e32 v120, 0xbf5db3d7, v109
	v_fmac_f32_e32 v118, -0.5, v113
	v_fmac_f32_e32 v116, 0x3f5db3d7, v113
	ds_write_b128 v97, v[105:108]
	v_sub_f32_e32 v107, v95, v111
	v_sub_f32_e32 v108, v110, v112
	v_add_f32_e32 v105, v96, v118
	v_add_f32_e32 v106, v120, v116
	ds_write_b128 v97, v[105:108] offset:16
	v_sub_f32_e32 v108, v120, v116
	v_sub_f32_e32 v105, v119, v115
	;; [unrolled: 1-line block ×4, first 2 shown]
	ds_write_b128 v97, v[105:108] offset:32
	s_waitcnt lgkmcnt(0)
	s_barrier
	ds_read2_b64 v[105:108], v94 offset0:16 offset1:232
	ds_read2_b64 v[109:112], v93 offset0:32 offset1:248
	s_waitcnt lgkmcnt(1)
	v_mul_f32_e32 v95, v9, v106
	v_mul_f32_e32 v9, v9, v105
	v_fmac_f32_e32 v95, v8, v105
	v_fma_f32 v96, v8, v106, -v9
	s_waitcnt lgkmcnt(0)
	v_mul_f32_e32 v8, v11, v109
	v_mul_f32_e32 v97, v11, v110
	v_fma_f32 v99, v10, v110, -v8
	v_mul_f32_e32 v105, v13, v108
	v_mul_f32_e32 v8, v13, v107
	v_fmac_f32_e32 v97, v10, v109
	v_fmac_f32_e32 v105, v12, v107
	v_fma_f32 v106, v12, v108, -v8
	v_mul_f32_e32 v107, v15, v112
	ds_read2_b64 v[8:11], v92 offset0:16 offset1:232
	v_mul_f32_e32 v12, v15, v111
	v_fmac_f32_e32 v107, v14, v111
	v_fma_f32 v108, v14, v112, -v12
	ds_read2_b64 v[12:15], v91 offset1:216
	s_waitcnt lgkmcnt(1)
	v_mul_f32_e32 v109, v5, v9
	v_mul_f32_e32 v5, v5, v8
	v_fmac_f32_e32 v109, v4, v8
	v_fma_f32 v8, v4, v9, -v5
	s_waitcnt lgkmcnt(0)
	v_mul_f32_e32 v9, v7, v13
	v_mul_f32_e32 v4, v7, v12
	v_fmac_f32_e32 v9, v6, v12
	v_fma_f32 v12, v6, v13, -v4
	ds_read2_b64 v[4:7], v90 offset0:16 offset1:232
	v_mul_f32_e32 v13, v1, v11
	v_mul_f32_e32 v1, v1, v10
	v_fmac_f32_e32 v13, v0, v10
	v_fma_f32 v10, v0, v11, -v1
	v_mul_f32_e32 v11, v3, v15
	v_mul_f32_e32 v0, v3, v14
	v_fmac_f32_e32 v11, v2, v14
	v_fma_f32 v14, v2, v15, -v0
	s_waitcnt lgkmcnt(0)
	v_mul_f32_e32 v15, v68, v5
	v_mul_f32_e32 v0, v68, v4
	v_fmac_f32_e32 v15, v67, v4
	v_fma_f32 v4, v67, v5, -v0
	ds_read2_b64 v[0:3], v89 offset1:216
	v_mul_f32_e32 v67, v66, v7
	v_mul_f32_e32 v5, v66, v6
	v_fmac_f32_e32 v67, v65, v6
	v_fma_f32 v6, v65, v7, -v5
	s_waitcnt lgkmcnt(0)
	v_add_f32_e32 v5, v1, v99
	v_add_f32_e32 v7, v5, v12
	v_sub_f32_e32 v65, v99, v12
	v_add_f32_e32 v5, v99, v12
	v_add_f32_e32 v12, v0, v97
	;; [unrolled: 1-line block ×4, first 2 shown]
	v_sub_f32_e32 v9, v97, v9
	v_add_f32_e32 v97, v109, v15
	v_add_f32_e32 v68, v95, v109
	v_fmac_f32_e32 v95, -0.5, v97
	v_add_f32_e32 v97, v96, v8
	v_add_f32_e32 v97, v97, v4
	v_sub_f32_e32 v99, v8, v4
	v_add_f32_e32 v4, v8, v4
	v_fmac_f32_e32 v96, -0.5, v4
	v_add_f32_e32 v8, v68, v15
	v_sub_f32_e32 v15, v109, v15
	v_mov_b32_e32 v68, v96
	v_mov_b32_e32 v4, v95
	v_fmac_f32_e32 v68, 0x3f5db3d7, v15
	v_fma_f32 v66, -0.5, v66, v0
	v_fma_f32 v111, -0.5, v5, v1
	v_fmac_f32_e32 v4, 0xbf5db3d7, v99
	v_mul_f32_e32 v109, 0xbf5db3d7, v68
	v_mul_f32_e32 v68, 0.5, v68
	v_mov_b32_e32 v110, v66
	v_mov_b32_e32 v112, v111
	v_fmac_f32_e32 v109, 0.5, v4
	v_fmac_f32_e32 v68, 0x3f5db3d7, v4
	v_fmac_f32_e32 v110, 0xbf5db3d7, v65
	;; [unrolled: 1-line block ×3, first 2 shown]
	v_add_f32_e32 v0, v12, v8
	v_add_f32_e32 v1, v7, v97
	;; [unrolled: 1-line block ×4, first 2 shown]
	v_fmac_f32_e32 v96, 0xbf5db3d7, v15
	s_barrier
	ds_write2_b64 v98, v[0:1], v[4:5] offset1:6
	v_sub_f32_e32 v0, v12, v8
	v_sub_f32_e32 v1, v7, v97
	v_fmac_f32_e32 v95, 0x3f5db3d7, v99
	v_mul_f32_e32 v7, 0xbf5db3d7, v96
	v_mul_f32_e32 v8, -0.5, v96
	v_fmac_f32_e32 v66, 0x3f5db3d7, v65
	v_fmac_f32_e32 v111, 0xbf5db3d7, v9
	v_fmac_f32_e32 v7, -0.5, v95
	v_fmac_f32_e32 v8, 0x3f5db3d7, v95
	v_add_f32_e32 v4, v66, v7
	v_add_f32_e32 v5, v111, v8
	ds_write2_b64 v98, v[4:5], v[0:1] offset0:12 offset1:18
	v_sub_f32_e32 v0, v110, v109
	v_sub_f32_e32 v1, v112, v68
	;; [unrolled: 1-line block ×4, first 2 shown]
	ds_write2_b64 v98, v[0:1], v[4:5] offset0:24 offset1:30
	v_add_f32_e32 v4, v13, v67
	v_add_f32_e32 v0, v3, v108
	;; [unrolled: 1-line block ×3, first 2 shown]
	v_fmac_f32_e32 v105, -0.5, v4
	v_add_f32_e32 v4, v106, v10
	v_add_f32_e32 v7, v0, v14
	;; [unrolled: 1-line block ×5, first 2 shown]
	v_fmac_f32_e32 v3, -0.5, v0
	v_add_f32_e32 v0, v2, v107
	v_fmac_f32_e32 v106, -0.5, v4
	v_sub_f32_e32 v8, v108, v14
	v_add_f32_e32 v9, v0, v11
	v_add_f32_e32 v0, v107, v11
	v_sub_f32_e32 v14, v10, v6
	v_sub_f32_e32 v10, v13, v67
	v_mov_b32_e32 v4, v106
	v_add_f32_e32 v6, v1, v67
	v_mov_b32_e32 v1, v105
	v_fmac_f32_e32 v4, 0x3f5db3d7, v10
	v_fma_f32 v2, -0.5, v0, v2
	v_sub_f32_e32 v11, v107, v11
	v_fmac_f32_e32 v1, 0xbf5db3d7, v14
	v_mul_f32_e32 v13, 0xbf5db3d7, v4
	v_mul_f32_e32 v15, 0.5, v4
	v_mov_b32_e32 v65, v2
	v_mov_b32_e32 v66, v3
	v_fmac_f32_e32 v13, 0.5, v1
	v_fmac_f32_e32 v15, 0x3f5db3d7, v1
	v_fmac_f32_e32 v65, 0xbf5db3d7, v8
	;; [unrolled: 1-line block ×3, first 2 shown]
	v_add_f32_e32 v0, v9, v6
	v_add_f32_e32 v1, v7, v12
	;; [unrolled: 1-line block ×4, first 2 shown]
	v_fmac_f32_e32 v106, 0xbf5db3d7, v10
	ds_write2_b64 v101, v[0:1], v[4:5] offset1:6
	v_sub_f32_e32 v0, v9, v6
	v_sub_f32_e32 v1, v7, v12
	v_fmac_f32_e32 v105, 0x3f5db3d7, v14
	v_mul_f32_e32 v6, 0xbf5db3d7, v106
	v_mul_f32_e32 v7, -0.5, v106
	v_fmac_f32_e32 v2, 0x3f5db3d7, v8
	v_fmac_f32_e32 v3, 0xbf5db3d7, v11
	v_fmac_f32_e32 v6, -0.5, v105
	v_fmac_f32_e32 v7, 0x3f5db3d7, v105
	v_add_f32_e32 v4, v2, v6
	v_add_f32_e32 v5, v3, v7
	ds_write2_b64 v101, v[4:5], v[0:1] offset0:12 offset1:18
	v_sub_f32_e32 v1, v3, v7
	v_sub_f32_e32 v0, v2, v6
	;; [unrolled: 1-line block ×4, first 2 shown]
	ds_write2_b64 v101, v[2:3], v[0:1] offset0:24 offset1:30
	s_waitcnt lgkmcnt(0)
	s_barrier
	ds_read2_b64 v[0:3], v94 offset0:16 offset1:232
	ds_read2_b64 v[4:7], v93 offset0:32 offset1:248
	s_waitcnt lgkmcnt(1)
	v_mul_f32_e32 v8, v17, v1
	v_fmac_f32_e32 v8, v16, v0
	v_mul_f32_e32 v0, v17, v0
	v_fma_f32 v9, v16, v1, -v0
	s_waitcnt lgkmcnt(0)
	v_mul_f32_e32 v0, v19, v4
	v_fma_f32 v11, v18, v5, -v0
	v_mul_f32_e32 v12, v25, v3
	v_mul_f32_e32 v0, v25, v2
	;; [unrolled: 1-line block ×3, first 2 shown]
	v_fmac_f32_e32 v12, v24, v2
	v_fma_f32 v13, v24, v3, -v0
	ds_read2_b64 v[0:3], v92 offset0:16 offset1:232
	v_fmac_f32_e32 v10, v18, v4
	v_mul_f32_e32 v14, v27, v7
	v_mul_f32_e32 v4, v27, v6
	v_fmac_f32_e32 v14, v26, v6
	v_fma_f32 v15, v26, v7, -v4
	ds_read2_b64 v[4:7], v91 offset1:216
	s_waitcnt lgkmcnt(1)
	v_mul_f32_e32 v16, v29, v1
	v_fmac_f32_e32 v16, v28, v0
	v_mul_f32_e32 v0, v29, v0
	v_fma_f32 v17, v28, v1, -v0
	s_waitcnt lgkmcnt(0)
	v_mul_f32_e32 v0, v31, v4
	v_fma_f32 v19, v30, v5, -v0
	v_mul_f32_e32 v24, v21, v3
	v_mul_f32_e32 v0, v21, v2
	v_fmac_f32_e32 v24, v20, v2
	v_fma_f32 v20, v20, v3, -v0
	ds_read2_b64 v[0:3], v90 offset0:16 offset1:232
	v_mul_f32_e32 v18, v31, v5
	v_fmac_f32_e32 v18, v30, v4
	v_mul_f32_e32 v21, v23, v7
	v_mul_f32_e32 v4, v23, v6
	v_fmac_f32_e32 v21, v22, v6
	v_fma_f32 v22, v22, v7, -v4
	ds_read2_b64 v[4:7], v89 offset1:216
	s_waitcnt lgkmcnt(1)
	v_mul_f32_e32 v23, v72, v1
	v_fmac_f32_e32 v23, v71, v0
	v_mul_f32_e32 v0, v72, v0
	v_fma_f32 v0, v71, v1, -v0
	v_mul_f32_e32 v25, v70, v3
	v_mul_f32_e32 v1, v70, v2
	v_fmac_f32_e32 v25, v69, v2
	v_fma_f32 v26, v69, v3, -v1
	s_waitcnt lgkmcnt(0)
	v_add_f32_e32 v1, v5, v11
	v_add_f32_e32 v2, v4, v10
	;; [unrolled: 1-line block ×3, first 2 shown]
	v_sub_f32_e32 v28, v11, v19
	v_add_f32_e32 v1, v11, v19
	v_add_f32_e32 v11, v2, v18
	;; [unrolled: 1-line block ×3, first 2 shown]
	v_sub_f32_e32 v10, v10, v18
	v_add_f32_e32 v18, v16, v23
	v_add_f32_e32 v3, v8, v16
	v_fmac_f32_e32 v8, -0.5, v18
	v_add_f32_e32 v18, v9, v17
	v_add_f32_e32 v18, v18, v0
	v_sub_f32_e32 v19, v17, v0
	v_add_f32_e32 v0, v17, v0
	v_fmac_f32_e32 v9, -0.5, v0
	v_add_f32_e32 v17, v3, v23
	v_sub_f32_e32 v16, v16, v23
	v_mov_b32_e32 v3, v9
	v_mov_b32_e32 v0, v8
	v_fmac_f32_e32 v3, 0x3f5db3d7, v16
	v_fma_f32 v30, -0.5, v2, v4
	v_fma_f32 v65, -0.5, v1, v5
	v_fmac_f32_e32 v0, 0xbf5db3d7, v19
	v_mul_f32_e32 v23, 0xbf5db3d7, v3
	v_mul_f32_e32 v29, 0.5, v3
	v_mov_b32_e32 v31, v30
	v_mov_b32_e32 v66, v65
	v_fmac_f32_e32 v23, 0.5, v0
	v_fmac_f32_e32 v29, 0x3f5db3d7, v0
	v_fmac_f32_e32 v31, 0xbf5db3d7, v28
	v_fmac_f32_e32 v66, 0x3f5db3d7, v10
	v_add_f32_e32 v0, v11, v17
	v_add_f32_e32 v1, v27, v18
	;; [unrolled: 1-line block ×4, first 2 shown]
	s_barrier
	ds_write2_b64 v100, v[0:1], v[2:3] offset1:36
	v_add_f32_e32 v0, v15, v22
	v_add_f32_e32 v67, v7, v15
	v_fmac_f32_e32 v7, -0.5, v0
	v_add_f32_e32 v0, v24, v25
	v_add_f32_e32 v68, v12, v24
	v_fmac_f32_e32 v12, -0.5, v0
	;; [unrolled: 3-line block ×3, first 2 shown]
	v_sub_f32_e32 v24, v24, v25
	v_add_f32_e32 v0, v14, v21
	v_sub_f32_e32 v20, v20, v26
	v_mov_b32_e32 v96, v13
	v_fmac_f32_e32 v13, 0xbf5db3d7, v24
	v_fma_f32 v2, -0.5, v0, v6
	v_sub_f32_e32 v71, v14, v21
	v_mov_b32_e32 v95, v12
	v_fmac_f32_e32 v12, 0x3f5db3d7, v20
	v_mul_f32_e32 v0, -0.5, v13
	v_mov_b32_e32 v72, v7
	v_fmac_f32_e32 v7, 0xbf5db3d7, v71
	v_fmac_f32_e32 v0, 0x3f5db3d7, v12
	;; [unrolled: 1-line block ×3, first 2 shown]
	v_add_f32_e32 v1, v7, v0
	v_sub_f32_e32 v3, v7, v0
	v_fmac_f32_e32 v8, 0x3f5db3d7, v19
	v_mul_f32_e32 v0, 0xbf5db3d7, v9
	v_mul_f32_e32 v13, 0xbf5db3d7, v13
	v_sub_f32_e32 v16, v15, v22
	v_sub_f32_e32 v4, v11, v17
	;; [unrolled: 1-line block ×3, first 2 shown]
	v_fmac_f32_e32 v30, 0x3f5db3d7, v28
	v_fmac_f32_e32 v0, -0.5, v8
	v_mul_f32_e32 v11, -0.5, v9
	v_fmac_f32_e32 v13, -0.5, v12
	v_mov_b32_e32 v18, v2
	v_fmac_f32_e32 v2, 0x3f5db3d7, v16
	v_add_f32_e32 v15, v67, v22
	v_add_f32_e32 v19, v69, v26
	v_fmac_f32_e32 v96, 0x3f5db3d7, v24
	v_add_f32_e32 v70, v6, v14
	v_fmac_f32_e32 v65, 0xbf5db3d7, v10
	v_fmac_f32_e32 v11, 0x3f5db3d7, v8
	v_add_f32_e32 v8, v30, v0
	v_sub_f32_e32 v10, v30, v0
	v_add_f32_e32 v0, v2, v13
	v_sub_f32_e32 v2, v2, v13
	;; [unrolled: 2-line block ×3, first 2 shown]
	v_fmac_f32_e32 v95, 0xbf5db3d7, v20
	v_mul_f32_e32 v19, 0xbf5db3d7, v96
	v_mul_f32_e32 v20, 0.5, v96
	v_add_f32_e32 v9, v65, v11
	v_add_f32_e32 v14, v70, v21
	;; [unrolled: 1-line block ×3, first 2 shown]
	v_fmac_f32_e32 v18, 0xbf5db3d7, v16
	v_fmac_f32_e32 v72, 0x3f5db3d7, v71
	v_fmac_f32_e32 v19, 0.5, v95
	v_fmac_f32_e32 v20, 0x3f5db3d7, v95
	v_sub_f32_e32 v6, v31, v23
	v_sub_f32_e32 v7, v66, v29
	;; [unrolled: 1-line block ×3, first 2 shown]
	v_add_f32_e32 v12, v14, v17
	v_sub_f32_e32 v14, v14, v17
	v_add_f32_e32 v16, v18, v19
	v_add_f32_e32 v17, v72, v20
	v_sub_f32_e32 v18, v18, v19
	v_sub_f32_e32 v19, v72, v20
	ds_write2_b64 v100, v[8:9], v[4:5] offset0:72 offset1:108
	ds_write2_b64 v100, v[6:7], v[10:11] offset0:144 offset1:180
	ds_write2_b64 v102, v[12:13], v[16:17] offset1:36
	ds_write2_b64 v102, v[0:1], v[14:15] offset0:72 offset1:108
	ds_write2_b64 v102, v[18:19], v[2:3] offset0:144 offset1:180
	s_waitcnt lgkmcnt(0)
	s_barrier
	ds_read2_b64 v[0:3], v94 offset0:16 offset1:232
	ds_read2_b64 v[4:7], v93 offset0:32 offset1:248
	ds_read2_b64 v[8:11], v92 offset0:16 offset1:232
	ds_read2_b64 v[12:15], v91 offset1:216
	v_mad_u64_u32 v[24:25], s[6:7], s2, v52, 0
	s_waitcnt lgkmcnt(2)
	v_mul_f32_e32 v18, v35, v5
	v_mul_f32_e32 v16, v33, v1
	v_fmac_f32_e32 v16, v32, v0
	v_mul_f32_e32 v0, v33, v0
	v_fma_f32 v17, v32, v1, -v0
	v_mul_f32_e32 v0, v33, v2
	v_fma_f32 v26, v32, v3, -v0
	v_mul_f32_e32 v0, v35, v4
	v_mul_f32_e32 v23, v33, v3
	v_fmac_f32_e32 v18, v34, v4
	v_fma_f32 v19, v34, v5, -v0
	v_mul_f32_e32 v0, v35, v6
	s_waitcnt lgkmcnt(1)
	v_mul_f32_e32 v22, v37, v9
	v_mul_f32_e32 v4, v37, v8
	v_fmac_f32_e32 v23, v32, v2
	v_fma_f32 v21, v34, v7, -v0
	ds_read2_b64 v[0:3], v90 offset0:16 offset1:232
	v_fmac_f32_e32 v22, v36, v8
	v_fma_f32 v8, v36, v9, -v4
	v_mul_f32_e32 v4, v37, v10
	v_mul_f32_e32 v27, v37, v11
	v_fma_f32 v28, v36, v11, -v4
	s_waitcnt lgkmcnt(1)
	v_mul_f32_e32 v4, v39, v12
	v_mul_f32_e32 v20, v35, v7
	v_fmac_f32_e32 v27, v36, v10
	v_fma_f32 v10, v38, v13, -v4
	v_mul_f32_e32 v29, v39, v15
	v_mul_f32_e32 v4, v39, v14
	v_fmac_f32_e32 v20, v34, v6
	v_fmac_f32_e32 v29, v38, v14
	v_fma_f32 v14, v38, v15, -v4
	ds_read2_b64 v[4:7], v89 offset1:216
	s_waitcnt lgkmcnt(1)
	v_mul_f32_e32 v11, v74, v1
	v_fmac_f32_e32 v11, v73, v0
	v_mul_f32_e32 v0, v74, v0
	v_mul_f32_e32 v9, v39, v13
	v_fma_f32 v0, v73, v1, -v0
	v_mul_f32_e32 v1, v74, v2
	v_fmac_f32_e32 v9, v38, v12
	v_fma_f32 v30, v73, v3, -v1
	s_waitcnt lgkmcnt(0)
	v_add_f32_e32 v1, v4, v18
	v_mul_f32_e32 v15, v74, v3
	v_add_f32_e32 v3, v1, v9
	v_add_f32_e32 v1, v18, v9
	v_fma_f32 v12, -0.5, v1, v4
	v_sub_f32_e32 v1, v19, v10
	v_mov_b32_e32 v13, v12
	v_fmac_f32_e32 v13, 0xbf5db3d7, v1
	v_fmac_f32_e32 v12, 0x3f5db3d7, v1
	v_add_f32_e32 v1, v5, v19
	v_add_f32_e32 v31, v1, v10
	;; [unrolled: 1-line block ×3, first 2 shown]
	v_fma_f32 v19, -0.5, v1, v5
	v_sub_f32_e32 v1, v18, v9
	v_mov_b32_e32 v18, v19
	v_fmac_f32_e32 v18, 0x3f5db3d7, v1
	v_fmac_f32_e32 v19, 0xbf5db3d7, v1
	v_add_f32_e32 v1, v16, v22
	v_add_f32_e32 v4, v1, v11
	;; [unrolled: 1-line block ×3, first 2 shown]
	v_fmac_f32_e32 v16, -0.5, v1
	v_fmac_f32_e32 v15, v73, v2
	v_sub_f32_e32 v1, v8, v0
	v_mov_b32_e32 v2, v16
	v_fmac_f32_e32 v2, 0xbf5db3d7, v1
	v_fmac_f32_e32 v16, 0x3f5db3d7, v1
	v_add_f32_e32 v1, v17, v8
	v_add_f32_e32 v5, v1, v0
	;; [unrolled: 1-line block ×3, first 2 shown]
	v_fmac_f32_e32 v17, -0.5, v0
	v_sub_f32_e32 v0, v22, v11
	v_mov_b32_e32 v1, v17
	v_fmac_f32_e32 v1, 0x3f5db3d7, v0
	v_fmac_f32_e32 v17, 0xbf5db3d7, v0
	v_mul_f32_e32 v10, 0xbf5db3d7, v1
	v_mul_f32_e32 v11, 0xbf5db3d7, v17
	v_mul_f32_e32 v17, -0.5, v17
	v_fmac_f32_e32 v10, 0.5, v2
	v_mul_f32_e32 v22, 0.5, v1
	v_fmac_f32_e32 v17, 0x3f5db3d7, v16
	v_fmac_f32_e32 v22, 0x3f5db3d7, v2
	v_add_f32_e32 v2, v13, v10
	v_add_f32_e32 v9, v19, v17
	v_sub_f32_e32 v10, v13, v10
	v_sub_f32_e32 v13, v19, v17
	v_add_f32_e32 v17, v20, v29
	v_fmac_f32_e32 v11, -0.5, v16
	v_add_f32_e32 v16, v6, v20
	v_fma_f32 v6, -0.5, v17, v6
	v_add_f32_e32 v0, v3, v4
	v_sub_f32_e32 v4, v3, v4
	v_add_f32_e32 v8, v12, v11
	v_add_f32_e32 v3, v18, v22
	v_sub_f32_e32 v12, v12, v11
	v_sub_f32_e32 v11, v18, v22
	;; [unrolled: 1-line block ×3, first 2 shown]
	v_mov_b32_e32 v22, v6
	v_fmac_f32_e32 v22, 0xbf5db3d7, v17
	v_fmac_f32_e32 v6, 0x3f5db3d7, v17
	v_add_f32_e32 v17, v7, v21
	v_add_f32_e32 v17, v17, v14
	v_add_f32_e32 v14, v21, v14
	v_fmac_f32_e32 v7, -0.5, v14
	v_sub_f32_e32 v14, v20, v29
	v_mov_b32_e32 v21, v7
	v_fmac_f32_e32 v21, 0x3f5db3d7, v14
	v_fmac_f32_e32 v7, 0xbf5db3d7, v14
	v_add_f32_e32 v14, v23, v27
	v_add_f32_e32 v18, v14, v15
	v_add_f32_e32 v14, v27, v15
	v_fmac_f32_e32 v23, -0.5, v14
	v_sub_f32_e32 v14, v28, v30
	;; [unrolled: 8-line block ×3, first 2 shown]
	v_mov_b32_e32 v27, v26
	v_fmac_f32_e32 v27, 0x3f5db3d7, v14
	v_fmac_f32_e32 v26, 0xbf5db3d7, v14
	v_add_f32_e32 v16, v16, v29
	v_mul_f32_e32 v28, 0xbf5db3d7, v27
	v_mul_f32_e32 v27, 0.5, v27
	v_mul_f32_e32 v29, 0xbf5db3d7, v26
	v_mul_f32_e32 v26, -0.5, v26
	v_fmac_f32_e32 v28, 0.5, v19
	v_fmac_f32_e32 v27, 0x3f5db3d7, v19
	v_fmac_f32_e32 v29, -0.5, v23
	v_fmac_f32_e32 v26, 0x3f5db3d7, v23
	v_add_f32_e32 v1, v31, v5
	v_sub_f32_e32 v5, v31, v5
	v_add_f32_e32 v14, v16, v18
	v_add_f32_e32 v15, v17, v20
	v_sub_f32_e32 v16, v16, v18
	v_sub_f32_e32 v17, v17, v20
	v_add_f32_e32 v18, v22, v28
	v_add_f32_e32 v19, v21, v27
	v_sub_f32_e32 v20, v22, v28
	;; [unrolled: 4-line block ×3, first 2 shown]
	v_sub_f32_e32 v7, v7, v26
	s_barrier
	ds_write2_b64 v89, v[0:1], v[2:3] offset1:216
	ds_write2_b64 v94, v[8:9], v[4:5] offset0:16 offset1:232
	ds_write2_b64 v93, v[10:11], v[12:13] offset0:32 offset1:248
	;; [unrolled: 1-line block ×3, first 2 shown]
	ds_write2_b64 v91, v[22:23], v[16:17] offset1:216
	ds_write2_b64 v90, v[20:21], v[6:7] offset0:16 offset1:232
	s_waitcnt lgkmcnt(0)
	s_barrier
	ds_read2_b64 v[0:3], v89 offset1:216
	ds_read2_b64 v[4:7], v92 offset0:16 offset1:232
	ds_read2_b64 v[8:11], v94 offset0:16 offset1:232
	ds_read2_b64 v[12:15], v91 offset1:216
	ds_read2_b64 v[16:19], v93 offset0:32 offset1:248
	ds_read2_b64 v[20:23], v90 offset0:16 offset1:232
	s_waitcnt lgkmcnt(4)
	v_mul_f32_e32 v26, v76, v5
	v_fmac_f32_e32 v26, v75, v4
	v_mul_f32_e32 v4, v76, v4
	v_fma_f32 v5, v75, v5, -v4
	v_mul_f32_e32 v4, v78, v6
	v_mul_f32_e32 v27, v78, v7
	v_fma_f32 v7, v77, v7, -v4
	s_waitcnt lgkmcnt(2)
	v_mul_f32_e32 v4, v80, v12
	v_mul_f32_e32 v28, v80, v13
	v_fma_f32 v13, v79, v13, -v4
	v_mul_f32_e32 v4, v82, v14
	v_mul_f32_e32 v29, v82, v15
	v_fma_f32 v15, v81, v15, -v4
	s_waitcnt lgkmcnt(0)
	v_mul_f32_e32 v4, v84, v20
	v_fmac_f32_e32 v27, v77, v6
	v_mul_f32_e32 v30, v84, v21
	v_fma_f32 v21, v83, v21, -v4
	v_mul_f32_e32 v31, v86, v23
	v_mul_f32_e32 v4, v86, v22
	v_fmac_f32_e32 v28, v79, v12
	v_fmac_f32_e32 v29, v81, v14
	;; [unrolled: 1-line block ×4, first 2 shown]
	v_fma_f32 v23, v85, v23, -v4
	v_sub_f32_e32 v4, v0, v26
	v_sub_f32_e32 v5, v1, v5
	;; [unrolled: 1-line block ×4, first 2 shown]
	v_fma_f32 v0, v0, 2.0, -v4
	v_fma_f32 v1, v1, 2.0, -v5
	v_fma_f32 v2, v2, 2.0, -v6
	v_fma_f32 v3, v3, 2.0, -v7
	v_sub_f32_e32 v12, v8, v28
	v_sub_f32_e32 v13, v9, v13
	;; [unrolled: 1-line block ×8, first 2 shown]
	v_fma_f32 v8, v8, 2.0, -v12
	v_fma_f32 v9, v9, 2.0, -v13
	;; [unrolled: 1-line block ×8, first 2 shown]
	ds_write_b64 v89, v[4:5] offset:10368
	ds_write2_b64 v89, v[0:1], v[2:3] offset1:216
	ds_write2_b64 v103, v[6:7], v[12:13] offset0:8 offset1:224
	ds_write2_b64 v94, v[8:9], v[10:11] offset0:16 offset1:232
	;; [unrolled: 1-line block ×4, first 2 shown]
	ds_write_b64 v89, v[22:23] offset:19008
	s_waitcnt lgkmcnt(0)
	s_barrier
	ds_read2_b64 v[0:3], v89 offset1:216
	v_mov_b32_e32 v4, v25
	v_mad_u64_u32 v[4:5], s[2:3], s3, v52, v[4:5]
	s_mov_b32 s2, 0xfcd6e9e0
	s_waitcnt lgkmcnt(0)
	v_mul_f32_e32 v5, v64, v1
	v_fmac_f32_e32 v5, v63, v0
	v_cvt_f64_f32_e32 v[5:6], v5
	s_mov_b32 s3, 0x3f3948b0
	v_mul_f32_e32 v0, v64, v0
	v_mad_u64_u32 v[8:9], s[6:7], s0, v88, 0
	v_mul_f64 v[5:6], v[5:6], s[2:3]
	v_fma_f32 v0, v63, v1, -v0
	v_cvt_f64_f32_e32 v[0:1], v0
	v_mov_b32_e32 v25, v4
	v_mov_b32_e32 v4, v9
	;; [unrolled: 1-line block ×3, first 2 shown]
	v_mul_f64 v[0:1], v[0:1], s[2:3]
	s_mul_hi_u32 s5, s0, 0xd80
	v_mad_u64_u32 v[9:10], s[6:7], s1, v88, v[4:5]
	v_cvt_f32_f64_e32 v10, v[5:6]
	ds_read2_b64 v[4:7], v94 offset0:16 offset1:232
	ds_read2_b64 v[20:23], v90 offset0:16 offset1:232
	v_cvt_f32_f64_e32 v11, v[0:1]
	v_lshlrev_b64 v[0:1], 3, v[24:25]
	s_waitcnt lgkmcnt(1)
	v_mul_f32_e32 v12, v62, v5
	v_fmac_f32_e32 v12, v61, v4
	v_mul_f32_e32 v4, v62, v4
	v_fma_f32 v4, v61, v5, -v4
	v_cvt_f64_f32_e32 v[4:5], v4
	v_add_co_u32_e32 v15, vcc, s4, v0
	v_addc_co_u32_e32 v14, vcc, v14, v1, vcc
	v_lshlrev_b64 v[0:1], 3, v[8:9]
	v_mul_f64 v[4:5], v[4:5], s[2:3]
	v_add_co_u32_e32 v0, vcc, v15, v0
	v_addc_co_u32_e32 v1, vcc, v14, v1, vcc
	global_store_dwordx2 v[0:1], v[10:11], off
	ds_read2_b64 v[8:11], v93 offset0:32 offset1:248
	v_cvt_f64_f32_e32 v[12:13], v12
	v_cvt_f32_f64_e32 v17, v[4:5]
	s_mul_i32 s4, s1, 0xd80
	s_add_i32 s4, s5, s4
	s_waitcnt lgkmcnt(0)
	v_mul_f32_e32 v4, v60, v9
	v_mul_f64 v[12:13], v[12:13], s[2:3]
	v_fmac_f32_e32 v4, v59, v8
	v_cvt_f64_f32_e32 v[4:5], v4
	v_mul_f32_e32 v8, v60, v8
	v_fma_f32 v8, v59, v9, -v8
	v_cvt_f64_f32_e32 v[8:9], v8
	v_mul_f64 v[4:5], v[4:5], s[2:3]
	s_mul_i32 s5, s0, 0xd80
	v_cvt_f32_f64_e32 v16, v[12:13]
	ds_read2_b64 v[12:15], v92 offset0:16 offset1:232
	v_mov_b32_e32 v18, s4
	v_add_co_u32_e32 v0, vcc, s5, v0
	v_mul_f64 v[8:9], v[8:9], s[2:3]
	v_cvt_f32_f64_e32 v4, v[4:5]
	s_waitcnt lgkmcnt(0)
	v_mul_f32_e32 v5, v58, v13
	v_addc_co_u32_e32 v1, vcc, v1, v18, vcc
	v_fmac_f32_e32 v5, v57, v12
	global_store_dwordx2 v[0:1], v[16:17], off
	v_cvt_f64_f32_e32 v[16:17], v5
	v_mul_f32_e32 v5, v58, v12
	v_fma_f32 v5, v57, v13, -v5
	v_cvt_f64_f32_e32 v[12:13], v5
	v_cvt_f32_f64_e32 v5, v[8:9]
	v_mul_f64 v[8:9], v[16:17], s[2:3]
	v_add_co_u32_e32 v0, vcc, s5, v0
	v_mul_f64 v[12:13], v[12:13], s[2:3]
	v_addc_co_u32_e32 v1, vcc, v1, v18, vcc
	ds_read2_b64 v[16:19], v91 offset1:216
	global_store_dwordx2 v[0:1], v[4:5], off
	v_cvt_f32_f64_e32 v4, v[8:9]
	v_mov_b32_e32 v24, s4
	v_add_co_u32_e32 v0, vcc, s5, v0
	v_cvt_f32_f64_e32 v5, v[12:13]
	s_waitcnt lgkmcnt(0)
	v_mul_f32_e32 v8, v54, v17
	v_mul_f32_e32 v12, v54, v16
	v_fmac_f32_e32 v8, v53, v16
	v_fma_f32 v12, v53, v17, -v12
	v_cvt_f64_f32_e32 v[8:9], v8
	v_cvt_f64_f32_e32 v[12:13], v12
	v_addc_co_u32_e32 v1, vcc, v1, v24, vcc
	global_store_dwordx2 v[0:1], v[4:5], off
	v_mul_f64 v[4:5], v[8:9], s[2:3]
	v_mul_f64 v[8:9], v[12:13], s[2:3]
	v_mul_f32_e32 v12, v56, v21
	v_fmac_f32_e32 v12, v55, v20
	v_cvt_f64_f32_e32 v[12:13], v12
	v_mul_f32_e32 v16, v56, v20
	v_fma_f32 v16, v55, v21, -v16
	v_cvt_f64_f32_e32 v[16:17], v16
	v_cvt_f32_f64_e32 v4, v[4:5]
	v_cvt_f32_f64_e32 v5, v[8:9]
	v_mul_f64 v[8:9], v[12:13], s[2:3]
	v_mul_f64 v[12:13], v[16:17], s[2:3]
	v_mov_b32_e32 v16, s4
	v_add_co_u32_e32 v0, vcc, s5, v0
	v_addc_co_u32_e32 v1, vcc, v1, v16, vcc
	global_store_dwordx2 v[0:1], v[4:5], off
	v_cvt_f32_f64_e32 v4, v[8:9]
	v_mul_f32_e32 v8, v51, v3
	v_fmac_f32_e32 v8, v50, v2
	v_cvt_f64_f32_e32 v[8:9], v8
	v_mul_f32_e32 v2, v51, v2
	v_fma_f32 v2, v50, v3, -v2
	v_cvt_f32_f64_e32 v5, v[12:13]
	v_mov_b32_e32 v12, s4
	v_cvt_f64_f32_e32 v[2:3], v2
	v_add_co_u32_e32 v0, vcc, s5, v0
	v_addc_co_u32_e32 v1, vcc, v1, v12, vcc
	v_mul_f32_e32 v12, v47, v7
	v_mul_f64 v[8:9], v[8:9], s[2:3]
	v_fmac_f32_e32 v12, v46, v6
	v_mul_f32_e32 v6, v47, v6
	v_fma_f32 v6, v46, v7, -v6
	v_mul_f64 v[2:3], v[2:3], s[2:3]
	v_cvt_f64_f32_e32 v[6:7], v6
	v_cvt_f64_f32_e32 v[12:13], v12
	global_store_dwordx2 v[0:1], v[4:5], off
	v_cvt_f32_f64_e32 v4, v[8:9]
	v_mul_f64 v[6:7], v[6:7], s[2:3]
	v_mul_f64 v[8:9], v[12:13], s[2:3]
	v_mad_u64_u32 v[0:1], s[6:7], s0, v87, v[0:1]
	v_cvt_f32_f64_e32 v5, v[2:3]
	s_mulk_i32 s1, 0xc340
	s_sub_i32 s0, s1, s0
	v_add_u32_e32 v1, s0, v1
	global_store_dwordx2 v[0:1], v[4:5], off
	v_cvt_f32_f64_e32 v3, v[6:7]
	v_mul_f32_e32 v4, v49, v11
	v_mul_f32_e32 v6, v49, v10
	v_fmac_f32_e32 v4, v48, v10
	v_fma_f32 v6, v48, v11, -v6
	v_cvt_f32_f64_e32 v2, v[8:9]
	v_cvt_f64_f32_e32 v[4:5], v4
	v_cvt_f64_f32_e32 v[6:7], v6
	v_mov_b32_e32 v8, s4
	v_add_co_u32_e32 v0, vcc, s5, v0
	v_addc_co_u32_e32 v1, vcc, v1, v8, vcc
	global_store_dwordx2 v[0:1], v[2:3], off
	v_mul_f64 v[2:3], v[4:5], s[2:3]
	v_mul_f64 v[4:5], v[6:7], s[2:3]
	v_mul_f32_e32 v6, v45, v15
	v_mul_f32_e32 v8, v45, v14
	v_fmac_f32_e32 v6, v44, v14
	v_fma_f32 v8, v44, v15, -v8
	v_cvt_f64_f32_e32 v[6:7], v6
	v_cvt_f64_f32_e32 v[8:9], v8
	v_cvt_f32_f64_e32 v2, v[2:3]
	v_cvt_f32_f64_e32 v3, v[4:5]
	v_mul_f64 v[4:5], v[6:7], s[2:3]
	v_mul_f64 v[6:7], v[8:9], s[2:3]
	v_mov_b32_e32 v8, s4
	v_add_co_u32_e32 v0, vcc, s5, v0
	v_addc_co_u32_e32 v1, vcc, v1, v8, vcc
	global_store_dwordx2 v[0:1], v[2:3], off
	v_cvt_f32_f64_e32 v2, v[4:5]
	v_cvt_f32_f64_e32 v3, v[6:7]
	v_mul_f32_e32 v4, v43, v19
	v_mul_f32_e32 v6, v43, v18
	v_fmac_f32_e32 v4, v42, v18
	v_fma_f32 v6, v42, v19, -v6
	v_cvt_f64_f32_e32 v[4:5], v4
	v_cvt_f64_f32_e32 v[6:7], v6
	v_add_co_u32_e32 v0, vcc, s5, v0
	v_addc_co_u32_e32 v1, vcc, v1, v8, vcc
	global_store_dwordx2 v[0:1], v[2:3], off
	v_mul_f64 v[2:3], v[4:5], s[2:3]
	v_mul_f64 v[4:5], v[6:7], s[2:3]
	v_mul_f32_e32 v6, v41, v23
	v_mul_f32_e32 v8, v41, v22
	v_fmac_f32_e32 v6, v40, v22
	v_fma_f32 v8, v40, v23, -v8
	v_cvt_f64_f32_e32 v[6:7], v6
	v_cvt_f64_f32_e32 v[8:9], v8
	v_cvt_f32_f64_e32 v2, v[2:3]
	v_cvt_f32_f64_e32 v3, v[4:5]
	v_mul_f64 v[4:5], v[6:7], s[2:3]
	v_mul_f64 v[6:7], v[8:9], s[2:3]
	v_mov_b32_e32 v8, s4
	v_add_co_u32_e32 v0, vcc, s5, v0
	v_addc_co_u32_e32 v1, vcc, v1, v8, vcc
	global_store_dwordx2 v[0:1], v[2:3], off
	v_cvt_f32_f64_e32 v2, v[4:5]
	v_cvt_f32_f64_e32 v3, v[6:7]
	v_mov_b32_e32 v4, s4
	v_add_co_u32_e32 v0, vcc, s5, v0
	v_addc_co_u32_e32 v1, vcc, v1, v4, vcc
	global_store_dwordx2 v[0:1], v[2:3], off
.LBB0_2:
	s_endpgm
	.section	.rodata,"a",@progbits
	.p2align	6, 0x0
	.amdhsa_kernel bluestein_single_back_len2592_dim1_sp_op_CI_CI
		.amdhsa_group_segment_fixed_size 20736
		.amdhsa_private_segment_fixed_size 0
		.amdhsa_kernarg_size 104
		.amdhsa_user_sgpr_count 6
		.amdhsa_user_sgpr_private_segment_buffer 1
		.amdhsa_user_sgpr_dispatch_ptr 0
		.amdhsa_user_sgpr_queue_ptr 0
		.amdhsa_user_sgpr_kernarg_segment_ptr 1
		.amdhsa_user_sgpr_dispatch_id 0
		.amdhsa_user_sgpr_flat_scratch_init 0
		.amdhsa_user_sgpr_private_segment_size 0
		.amdhsa_uses_dynamic_stack 0
		.amdhsa_system_sgpr_private_segment_wavefront_offset 0
		.amdhsa_system_sgpr_workgroup_id_x 1
		.amdhsa_system_sgpr_workgroup_id_y 0
		.amdhsa_system_sgpr_workgroup_id_z 0
		.amdhsa_system_sgpr_workgroup_info 0
		.amdhsa_system_vgpr_workitem_id 0
		.amdhsa_next_free_vgpr 141
		.amdhsa_next_free_sgpr 20
		.amdhsa_reserve_vcc 1
		.amdhsa_reserve_flat_scratch 0
		.amdhsa_float_round_mode_32 0
		.amdhsa_float_round_mode_16_64 0
		.amdhsa_float_denorm_mode_32 3
		.amdhsa_float_denorm_mode_16_64 3
		.amdhsa_dx10_clamp 1
		.amdhsa_ieee_mode 1
		.amdhsa_fp16_overflow 0
		.amdhsa_exception_fp_ieee_invalid_op 0
		.amdhsa_exception_fp_denorm_src 0
		.amdhsa_exception_fp_ieee_div_zero 0
		.amdhsa_exception_fp_ieee_overflow 0
		.amdhsa_exception_fp_ieee_underflow 0
		.amdhsa_exception_fp_ieee_inexact 0
		.amdhsa_exception_int_div_zero 0
	.end_amdhsa_kernel
	.text
.Lfunc_end0:
	.size	bluestein_single_back_len2592_dim1_sp_op_CI_CI, .Lfunc_end0-bluestein_single_back_len2592_dim1_sp_op_CI_CI
                                        ; -- End function
	.section	.AMDGPU.csdata,"",@progbits
; Kernel info:
; codeLenInByte = 10416
; NumSgprs: 24
; NumVgprs: 141
; ScratchSize: 0
; MemoryBound: 0
; FloatMode: 240
; IeeeMode: 1
; LDSByteSize: 20736 bytes/workgroup (compile time only)
; SGPRBlocks: 2
; VGPRBlocks: 35
; NumSGPRsForWavesPerEU: 24
; NumVGPRsForWavesPerEU: 141
; Occupancy: 1
; WaveLimiterHint : 1
; COMPUTE_PGM_RSRC2:SCRATCH_EN: 0
; COMPUTE_PGM_RSRC2:USER_SGPR: 6
; COMPUTE_PGM_RSRC2:TRAP_HANDLER: 0
; COMPUTE_PGM_RSRC2:TGID_X_EN: 1
; COMPUTE_PGM_RSRC2:TGID_Y_EN: 0
; COMPUTE_PGM_RSRC2:TGID_Z_EN: 0
; COMPUTE_PGM_RSRC2:TIDIG_COMP_CNT: 0
	.type	__hip_cuid_73cb4a60dd7526ff,@object ; @__hip_cuid_73cb4a60dd7526ff
	.section	.bss,"aw",@nobits
	.globl	__hip_cuid_73cb4a60dd7526ff
__hip_cuid_73cb4a60dd7526ff:
	.byte	0                               ; 0x0
	.size	__hip_cuid_73cb4a60dd7526ff, 1

	.ident	"AMD clang version 19.0.0git (https://github.com/RadeonOpenCompute/llvm-project roc-6.4.0 25133 c7fe45cf4b819c5991fe208aaa96edf142730f1d)"
	.section	".note.GNU-stack","",@progbits
	.addrsig
	.addrsig_sym __hip_cuid_73cb4a60dd7526ff
	.amdgpu_metadata
---
amdhsa.kernels:
  - .args:
      - .actual_access:  read_only
        .address_space:  global
        .offset:         0
        .size:           8
        .value_kind:     global_buffer
      - .actual_access:  read_only
        .address_space:  global
        .offset:         8
        .size:           8
        .value_kind:     global_buffer
      - .actual_access:  read_only
        .address_space:  global
        .offset:         16
        .size:           8
        .value_kind:     global_buffer
      - .actual_access:  read_only
        .address_space:  global
        .offset:         24
        .size:           8
        .value_kind:     global_buffer
      - .actual_access:  read_only
        .address_space:  global
        .offset:         32
        .size:           8
        .value_kind:     global_buffer
      - .offset:         40
        .size:           8
        .value_kind:     by_value
      - .address_space:  global
        .offset:         48
        .size:           8
        .value_kind:     global_buffer
      - .address_space:  global
        .offset:         56
        .size:           8
        .value_kind:     global_buffer
      - .address_space:  global
        .offset:         64
        .size:           8
        .value_kind:     global_buffer
      - .address_space:  global
        .offset:         72
        .size:           8
        .value_kind:     global_buffer
      - .offset:         80
        .size:           4
        .value_kind:     by_value
      - .address_space:  global
        .offset:         88
        .size:           8
        .value_kind:     global_buffer
      - .address_space:  global
        .offset:         96
        .size:           8
        .value_kind:     global_buffer
    .group_segment_fixed_size: 20736
    .kernarg_segment_align: 8
    .kernarg_segment_size: 104
    .language:       OpenCL C
    .language_version:
      - 2
      - 0
    .max_flat_workgroup_size: 216
    .name:           bluestein_single_back_len2592_dim1_sp_op_CI_CI
    .private_segment_fixed_size: 0
    .sgpr_count:     24
    .sgpr_spill_count: 0
    .symbol:         bluestein_single_back_len2592_dim1_sp_op_CI_CI.kd
    .uniform_work_group_size: 1
    .uses_dynamic_stack: false
    .vgpr_count:     141
    .vgpr_spill_count: 0
    .wavefront_size: 64
amdhsa.target:   amdgcn-amd-amdhsa--gfx906
amdhsa.version:
  - 1
  - 2
...

	.end_amdgpu_metadata
